;; amdgpu-corpus repo=ROCm/AMDMIGraphX kind=compiled arch=gfx906 opt=O3
	.text
	.amdgcn_target "amdgcn-amd-amdhsa--gfx906"
	.amdhsa_code_object_version 6
	.p2align	2                               ; -- Begin function _ZNK8migraphx13basic_printerIZNS_4coutEvEUlT_E_ElsEPKc
	.type	_ZNK8migraphx13basic_printerIZNS_4coutEvEUlT_E_ElsEPKc,@function
_ZNK8migraphx13basic_printerIZNS_4coutEvEUlT_E_ElsEPKc: ; @_ZNK8migraphx13basic_printerIZNS_4coutEvEUlT_E_ElsEPKc
; %bb.0:
	s_waitcnt vmcnt(0) expcnt(0) lgkmcnt(0)
	s_load_dwordx2 s[6:7], s[8:9], 0x50
	v_mbcnt_lo_u32_b32 v2, -1, 0
	v_mbcnt_hi_u32_b32 v35, -1, v2
	v_readfirstlane_b32 s4, v35
	v_mov_b32_e32 v7, 0
	v_mov_b32_e32 v8, 0
	v_cmp_eq_u32_e64 s[4:5], s4, v35
	s_and_saveexec_b64 s[8:9], s[4:5]
	s_cbranch_execz .LBB0_6
; %bb.1:
	v_mov_b32_e32 v2, 0
	s_waitcnt lgkmcnt(0)
	global_load_dwordx2 v[5:6], v2, s[6:7] offset:24 glc
	s_waitcnt vmcnt(0)
	buffer_wbinvl1_vol
	global_load_dwordx2 v[3:4], v2, s[6:7] offset:40
	global_load_dwordx2 v[7:8], v2, s[6:7]
	s_waitcnt vmcnt(1)
	v_and_b32_e32 v3, v3, v5
	v_and_b32_e32 v4, v4, v6
	v_mul_lo_u32 v4, v4, 24
	v_mul_hi_u32 v9, v3, 24
	v_mul_lo_u32 v3, v3, 24
	v_add_u32_e32 v4, v9, v4
	s_waitcnt vmcnt(0)
	v_add_co_u32_e32 v3, vcc, v7, v3
	v_addc_co_u32_e32 v4, vcc, v8, v4, vcc
	global_load_dwordx2 v[3:4], v[3:4], off glc
	s_waitcnt vmcnt(0)
	global_atomic_cmpswap_x2 v[7:8], v2, v[3:6], s[6:7] offset:24 glc
	s_waitcnt vmcnt(0)
	buffer_wbinvl1_vol
	v_cmp_ne_u64_e32 vcc, v[7:8], v[5:6]
	s_and_saveexec_b64 s[10:11], vcc
	s_cbranch_execz .LBB0_5
; %bb.2:
	s_mov_b64 s[12:13], 0
.LBB0_3:                                ; =>This Inner Loop Header: Depth=1
	s_sleep 1
	global_load_dwordx2 v[3:4], v2, s[6:7] offset:40
	global_load_dwordx2 v[9:10], v2, s[6:7]
	v_mov_b32_e32 v5, v7
	v_mov_b32_e32 v6, v8
	s_waitcnt vmcnt(1)
	v_and_b32_e32 v3, v3, v5
	s_waitcnt vmcnt(0)
	v_mad_u64_u32 v[7:8], s[14:15], v3, 24, v[9:10]
	v_and_b32_e32 v4, v4, v6
	v_mov_b32_e32 v3, v8
	v_mad_u64_u32 v[3:4], s[14:15], v4, 24, v[3:4]
	v_mov_b32_e32 v8, v3
	global_load_dwordx2 v[3:4], v[7:8], off glc
	s_waitcnt vmcnt(0)
	global_atomic_cmpswap_x2 v[7:8], v2, v[3:6], s[6:7] offset:24 glc
	s_waitcnt vmcnt(0)
	buffer_wbinvl1_vol
	v_cmp_eq_u64_e32 vcc, v[7:8], v[5:6]
	s_or_b64 s[12:13], vcc, s[12:13]
	s_andn2_b64 exec, exec, s[12:13]
	s_cbranch_execnz .LBB0_3
; %bb.4:
	s_or_b64 exec, exec, s[12:13]
.LBB0_5:
	s_or_b64 exec, exec, s[10:11]
.LBB0_6:
	s_or_b64 exec, exec, s[8:9]
	v_mov_b32_e32 v6, 0
	s_waitcnt lgkmcnt(0)
	global_load_dwordx2 v[9:10], v6, s[6:7] offset:40
	global_load_dwordx4 v[2:5], v6, s[6:7]
	v_readfirstlane_b32 s8, v7
	v_readfirstlane_b32 s9, v8
	s_mov_b64 s[10:11], exec
	s_waitcnt vmcnt(1)
	v_readfirstlane_b32 s12, v9
	v_readfirstlane_b32 s13, v10
	s_and_b64 s[12:13], s[8:9], s[12:13]
	s_mul_i32 s14, s13, 24
	s_mul_hi_u32 s15, s12, 24
	s_mul_i32 s16, s12, 24
	s_add_i32 s14, s15, s14
	v_mov_b32_e32 v7, s14
	s_waitcnt vmcnt(0)
	v_add_co_u32_e32 v9, vcc, s16, v2
	v_addc_co_u32_e32 v10, vcc, v3, v7, vcc
	s_and_saveexec_b64 s[14:15], s[4:5]
	s_cbranch_execz .LBB0_8
; %bb.7:
	v_mov_b32_e32 v12, s11
	v_mov_b32_e32 v11, s10
	;; [unrolled: 1-line block ×4, first 2 shown]
	global_store_dwordx4 v[9:10], v[11:14], off offset:8
.LBB0_8:
	s_or_b64 exec, exec, s[14:15]
	s_lshl_b64 s[10:11], s[12:13], 12
	v_mov_b32_e32 v7, s11
	v_add_co_u32_e32 v4, vcc, s10, v4
	v_addc_co_u32_e32 v13, vcc, v5, v7, vcc
	s_mov_b32 s12, 0
	v_lshlrev_b32_e32 v34, 6, v35
	v_mov_b32_e32 v5, 33
	v_mov_b32_e32 v7, v6
	;; [unrolled: 1-line block ×3, first 2 shown]
	v_readfirstlane_b32 s10, v4
	v_readfirstlane_b32 s11, v13
	v_add_co_u32_e32 v11, vcc, v4, v34
	s_mov_b32 s13, s12
	s_mov_b32 s14, s12
	s_mov_b32 s15, s12
	s_nop 0
	global_store_dwordx4 v34, v[5:8], s[10:11]
	v_mov_b32_e32 v4, s12
	v_addc_co_u32_e32 v12, vcc, 0, v13, vcc
	v_mov_b32_e32 v5, s13
	v_mov_b32_e32 v6, s14
	;; [unrolled: 1-line block ×3, first 2 shown]
	global_store_dwordx4 v34, v[4:7], s[10:11] offset:16
	global_store_dwordx4 v34, v[4:7], s[10:11] offset:32
	;; [unrolled: 1-line block ×3, first 2 shown]
	s_and_saveexec_b64 s[10:11], s[4:5]
	s_cbranch_execz .LBB0_16
; %bb.9:
	v_mov_b32_e32 v8, 0
	global_load_dwordx2 v[15:16], v8, s[6:7] offset:32 glc
	global_load_dwordx2 v[4:5], v8, s[6:7] offset:40
	v_mov_b32_e32 v13, s8
	v_mov_b32_e32 v14, s9
	s_waitcnt vmcnt(0)
	v_and_b32_e32 v4, s8, v4
	v_and_b32_e32 v5, s9, v5
	v_mul_lo_u32 v5, v5, 24
	v_mul_hi_u32 v6, v4, 24
	v_mul_lo_u32 v4, v4, 24
	v_add_u32_e32 v5, v6, v5
	v_add_co_u32_e32 v6, vcc, v2, v4
	v_addc_co_u32_e32 v7, vcc, v3, v5, vcc
	global_store_dwordx2 v[6:7], v[15:16], off
	s_waitcnt vmcnt(0)
	global_atomic_cmpswap_x2 v[4:5], v8, v[13:16], s[6:7] offset:32 glc
	s_waitcnt vmcnt(0)
	v_cmp_ne_u64_e32 vcc, v[4:5], v[15:16]
	s_and_saveexec_b64 s[12:13], vcc
	s_cbranch_execz .LBB0_12
; %bb.10:
	s_mov_b64 s[14:15], 0
.LBB0_11:                               ; =>This Inner Loop Header: Depth=1
	s_sleep 1
	global_store_dwordx2 v[6:7], v[4:5], off
	v_mov_b32_e32 v2, s8
	v_mov_b32_e32 v3, s9
	s_waitcnt vmcnt(0)
	global_atomic_cmpswap_x2 v[2:3], v8, v[2:5], s[6:7] offset:32 glc
	s_waitcnt vmcnt(0)
	v_cmp_eq_u64_e32 vcc, v[2:3], v[4:5]
	v_mov_b32_e32 v5, v3
	s_or_b64 s[14:15], vcc, s[14:15]
	v_mov_b32_e32 v4, v2
	s_andn2_b64 exec, exec, s[14:15]
	s_cbranch_execnz .LBB0_11
.LBB0_12:
	s_or_b64 exec, exec, s[12:13]
	v_mov_b32_e32 v5, 0
	global_load_dwordx2 v[2:3], v5, s[6:7] offset:16
	s_mov_b64 s[12:13], exec
	v_mbcnt_lo_u32_b32 v4, s12, 0
	v_mbcnt_hi_u32_b32 v4, s13, v4
	v_cmp_eq_u32_e32 vcc, 0, v4
	s_and_saveexec_b64 s[14:15], vcc
	s_cbranch_execz .LBB0_14
; %bb.13:
	s_bcnt1_i32_b64 s12, s[12:13]
	v_mov_b32_e32 v4, s12
	s_waitcnt vmcnt(0)
	global_atomic_add_x2 v[2:3], v[4:5], off offset:8
.LBB0_14:
	s_or_b64 exec, exec, s[14:15]
	s_waitcnt vmcnt(0)
	global_load_dwordx2 v[4:5], v[2:3], off offset:16
	s_waitcnt vmcnt(0)
	v_cmp_eq_u64_e32 vcc, 0, v[4:5]
	s_cbranch_vccnz .LBB0_16
; %bb.15:
	global_load_dword v2, v[2:3], off offset:24
	v_mov_b32_e32 v3, 0
	s_waitcnt vmcnt(0)
	global_store_dwordx2 v[4:5], v[2:3], off
	v_and_b32_e32 v2, 0xffffff, v2
	v_readfirstlane_b32 m0, v2
	s_sendmsg sendmsg(MSG_INTERRUPT)
.LBB0_16:
	s_or_b64 exec, exec, s[10:11]
	s_branch .LBB0_20
.LBB0_17:                               ;   in Loop: Header=BB0_20 Depth=1
	s_or_b64 exec, exec, s[10:11]
	v_readfirstlane_b32 s10, v2
	s_cmp_eq_u32 s10, 0
	s_cbranch_scc1 .LBB0_19
; %bb.18:                               ;   in Loop: Header=BB0_20 Depth=1
	s_sleep 1
	s_cbranch_execnz .LBB0_20
	s_branch .LBB0_22
.LBB0_19:
	s_branch .LBB0_22
.LBB0_20:                               ; =>This Inner Loop Header: Depth=1
	v_mov_b32_e32 v2, 1
	s_and_saveexec_b64 s[10:11], s[4:5]
	s_cbranch_execz .LBB0_17
; %bb.21:                               ;   in Loop: Header=BB0_20 Depth=1
	global_load_dword v2, v[9:10], off offset:20 glc
	s_waitcnt vmcnt(0)
	buffer_wbinvl1_vol
	v_and_b32_e32 v2, 1, v2
	s_branch .LBB0_17
.LBB0_22:
	global_load_dwordx2 v[6:7], v[11:12], off
	s_and_saveexec_b64 s[10:11], s[4:5]
	s_cbranch_execz .LBB0_25
; %bb.23:
	v_mov_b32_e32 v10, 0
	global_load_dwordx2 v[4:5], v10, s[6:7] offset:40
	global_load_dwordx2 v[11:12], v10, s[6:7] offset:24 glc
	global_load_dwordx2 v[8:9], v10, s[6:7]
	v_mov_b32_e32 v3, s9
	s_mov_b64 s[4:5], 0
	s_waitcnt vmcnt(2)
	v_add_co_u32_e32 v13, vcc, 1, v4
	v_addc_co_u32_e32 v14, vcc, 0, v5, vcc
	v_add_co_u32_e32 v2, vcc, s8, v13
	v_addc_co_u32_e32 v3, vcc, v14, v3, vcc
	v_cmp_eq_u64_e32 vcc, 0, v[2:3]
	v_cndmask_b32_e32 v3, v3, v14, vcc
	v_cndmask_b32_e32 v2, v2, v13, vcc
	v_and_b32_e32 v5, v3, v5
	v_and_b32_e32 v4, v2, v4
	v_mul_lo_u32 v5, v5, 24
	v_mul_hi_u32 v13, v4, 24
	v_mul_lo_u32 v14, v4, 24
	s_waitcnt vmcnt(1)
	v_mov_b32_e32 v4, v11
	v_add_u32_e32 v5, v13, v5
	s_waitcnt vmcnt(0)
	v_add_co_u32_e32 v8, vcc, v8, v14
	v_addc_co_u32_e32 v9, vcc, v9, v5, vcc
	global_store_dwordx2 v[8:9], v[11:12], off
	v_mov_b32_e32 v5, v12
	s_waitcnt vmcnt(0)
	global_atomic_cmpswap_x2 v[4:5], v10, v[2:5], s[6:7] offset:24 glc
	s_waitcnt vmcnt(0)
	v_cmp_ne_u64_e32 vcc, v[4:5], v[11:12]
	s_and_b64 exec, exec, vcc
	s_cbranch_execz .LBB0_25
.LBB0_24:                               ; =>This Inner Loop Header: Depth=1
	s_sleep 1
	global_store_dwordx2 v[8:9], v[4:5], off
	s_waitcnt vmcnt(0)
	global_atomic_cmpswap_x2 v[11:12], v10, v[2:5], s[6:7] offset:24 glc
	s_waitcnt vmcnt(0)
	v_cmp_eq_u64_e32 vcc, v[11:12], v[4:5]
	v_mov_b32_e32 v4, v11
	s_or_b64 s[4:5], vcc, s[4:5]
	v_mov_b32_e32 v5, v12
	s_andn2_b64 exec, exec, s[4:5]
	s_cbranch_execnz .LBB0_24
.LBB0_25:
	s_or_b64 exec, exec, s[10:11]
	s_getpc_b64 s[8:9]
	s_add_u32 s8, s8, .str.5@rel32@lo+4
	s_addc_u32 s9, s9, .str.5@rel32@hi+12
	s_cmp_lg_u64 s[8:9], 0
	s_cbranch_scc0 .LBB0_110
; %bb.26:
	s_waitcnt vmcnt(0)
	v_and_b32_e32 v31, 2, v6
	v_mov_b32_e32 v28, 0
	v_and_b32_e32 v2, -3, v6
	v_mov_b32_e32 v3, v7
	s_mov_b64 s[10:11], 3
	v_mov_b32_e32 v10, 2
	v_mov_b32_e32 v11, 1
	s_branch .LBB0_28
.LBB0_27:                               ;   in Loop: Header=BB0_28 Depth=1
	s_or_b64 exec, exec, s[16:17]
	s_sub_u32 s10, s10, s12
	s_subb_u32 s11, s11, s13
	s_add_u32 s8, s8, s12
	s_addc_u32 s9, s9, s13
	s_cmp_lg_u64 s[10:11], 0
	s_cbranch_scc0 .LBB0_109
.LBB0_28:                               ; =>This Loop Header: Depth=1
                                        ;     Child Loop BB0_31 Depth 2
                                        ;     Child Loop BB0_38 Depth 2
	;; [unrolled: 1-line block ×11, first 2 shown]
	v_cmp_lt_u64_e64 s[4:5], s[10:11], 56
	v_cmp_gt_u64_e64 s[14:15], s[10:11], 7
	s_and_b64 s[4:5], s[4:5], exec
	s_cselect_b32 s13, s11, 0
	s_cselect_b32 s12, s10, 56
	s_and_b64 vcc, exec, s[14:15]
	s_cbranch_vccnz .LBB0_33
; %bb.29:                               ;   in Loop: Header=BB0_28 Depth=1
	s_waitcnt vmcnt(0)
	v_mov_b32_e32 v4, 0
	s_cmp_eq_u64 s[10:11], 0
	v_mov_b32_e32 v5, 0
	s_mov_b64 s[4:5], 0
	s_cbranch_scc1 .LBB0_32
; %bb.30:                               ;   in Loop: Header=BB0_28 Depth=1
	v_mov_b32_e32 v4, 0
	s_lshl_b64 s[14:15], s[12:13], 3
	s_mov_b64 s[16:17], 0
	v_mov_b32_e32 v5, 0
	s_mov_b64 s[18:19], s[8:9]
.LBB0_31:                               ;   Parent Loop BB0_28 Depth=1
                                        ; =>  This Inner Loop Header: Depth=2
	global_load_ubyte v8, v28, s[18:19]
	s_waitcnt vmcnt(0)
	v_and_b32_e32 v27, 0xffff, v8
	v_lshlrev_b64 v[8:9], s16, v[27:28]
	s_add_u32 s16, s16, 8
	s_addc_u32 s17, s17, 0
	s_add_u32 s18, s18, 1
	s_addc_u32 s19, s19, 0
	v_or_b32_e32 v4, v8, v4
	s_cmp_lg_u32 s14, s16
	v_or_b32_e32 v5, v9, v5
	s_cbranch_scc1 .LBB0_31
.LBB0_32:                               ;   in Loop: Header=BB0_28 Depth=1
	s_mov_b32 s18, 0
	s_andn2_b64 vcc, exec, s[4:5]
	s_mov_b64 s[4:5], s[8:9]
	s_cbranch_vccz .LBB0_34
	s_branch .LBB0_35
.LBB0_33:                               ;   in Loop: Header=BB0_28 Depth=1
                                        ; implicit-def: $vgpr4_vgpr5
                                        ; implicit-def: $sgpr18
	s_mov_b64 s[4:5], s[8:9]
.LBB0_34:                               ;   in Loop: Header=BB0_28 Depth=1
	global_load_dwordx2 v[4:5], v28, s[8:9]
	s_add_i32 s18, s12, -8
	s_add_u32 s4, s8, 8
	s_addc_u32 s5, s9, 0
.LBB0_35:                               ;   in Loop: Header=BB0_28 Depth=1
	s_cmp_gt_u32 s18, 7
	s_cbranch_scc1 .LBB0_39
; %bb.36:                               ;   in Loop: Header=BB0_28 Depth=1
	s_cmp_eq_u32 s18, 0
	s_cbranch_scc1 .LBB0_40
; %bb.37:                               ;   in Loop: Header=BB0_28 Depth=1
	v_mov_b32_e32 v12, 0
	s_mov_b64 s[14:15], 0
	v_mov_b32_e32 v13, 0
	s_mov_b64 s[16:17], 0
.LBB0_38:                               ;   Parent Loop BB0_28 Depth=1
                                        ; =>  This Inner Loop Header: Depth=2
	s_add_u32 s20, s4, s16
	s_addc_u32 s21, s5, s17
	global_load_ubyte v8, v28, s[20:21]
	s_add_u32 s16, s16, 1
	s_addc_u32 s17, s17, 0
	s_waitcnt vmcnt(0)
	v_and_b32_e32 v27, 0xffff, v8
	v_lshlrev_b64 v[8:9], s14, v[27:28]
	s_add_u32 s14, s14, 8
	s_addc_u32 s15, s15, 0
	v_or_b32_e32 v12, v8, v12
	s_cmp_lg_u32 s18, s16
	v_or_b32_e32 v13, v9, v13
	s_cbranch_scc1 .LBB0_38
	s_branch .LBB0_41
.LBB0_39:                               ;   in Loop: Header=BB0_28 Depth=1
                                        ; implicit-def: $vgpr12_vgpr13
                                        ; implicit-def: $sgpr19
	s_branch .LBB0_42
.LBB0_40:                               ;   in Loop: Header=BB0_28 Depth=1
	v_mov_b32_e32 v12, 0
	v_mov_b32_e32 v13, 0
.LBB0_41:                               ;   in Loop: Header=BB0_28 Depth=1
	s_mov_b32 s19, 0
	s_cbranch_execnz .LBB0_43
.LBB0_42:                               ;   in Loop: Header=BB0_28 Depth=1
	global_load_dwordx2 v[12:13], v28, s[4:5]
	s_add_i32 s19, s18, -8
	s_add_u32 s4, s4, 8
	s_addc_u32 s5, s5, 0
.LBB0_43:                               ;   in Loop: Header=BB0_28 Depth=1
	s_cmp_gt_u32 s19, 7
	s_cbranch_scc1 .LBB0_47
; %bb.44:                               ;   in Loop: Header=BB0_28 Depth=1
	s_cmp_eq_u32 s19, 0
	s_cbranch_scc1 .LBB0_48
; %bb.45:                               ;   in Loop: Header=BB0_28 Depth=1
	v_mov_b32_e32 v14, 0
	s_mov_b64 s[14:15], 0
	v_mov_b32_e32 v15, 0
	s_mov_b64 s[16:17], 0
.LBB0_46:                               ;   Parent Loop BB0_28 Depth=1
                                        ; =>  This Inner Loop Header: Depth=2
	s_add_u32 s20, s4, s16
	s_addc_u32 s21, s5, s17
	global_load_ubyte v8, v28, s[20:21]
	s_add_u32 s16, s16, 1
	s_addc_u32 s17, s17, 0
	s_waitcnt vmcnt(0)
	v_and_b32_e32 v27, 0xffff, v8
	v_lshlrev_b64 v[8:9], s14, v[27:28]
	s_add_u32 s14, s14, 8
	s_addc_u32 s15, s15, 0
	v_or_b32_e32 v14, v8, v14
	s_cmp_lg_u32 s19, s16
	v_or_b32_e32 v15, v9, v15
	s_cbranch_scc1 .LBB0_46
	s_branch .LBB0_49
.LBB0_47:                               ;   in Loop: Header=BB0_28 Depth=1
                                        ; implicit-def: $sgpr18
	s_branch .LBB0_50
.LBB0_48:                               ;   in Loop: Header=BB0_28 Depth=1
	v_mov_b32_e32 v14, 0
	v_mov_b32_e32 v15, 0
.LBB0_49:                               ;   in Loop: Header=BB0_28 Depth=1
	s_mov_b32 s18, 0
	s_cbranch_execnz .LBB0_51
.LBB0_50:                               ;   in Loop: Header=BB0_28 Depth=1
	global_load_dwordx2 v[14:15], v28, s[4:5]
	s_add_i32 s18, s19, -8
	s_add_u32 s4, s4, 8
	s_addc_u32 s5, s5, 0
.LBB0_51:                               ;   in Loop: Header=BB0_28 Depth=1
	s_cmp_gt_u32 s18, 7
	s_cbranch_scc1 .LBB0_55
; %bb.52:                               ;   in Loop: Header=BB0_28 Depth=1
	s_cmp_eq_u32 s18, 0
	s_cbranch_scc1 .LBB0_56
; %bb.53:                               ;   in Loop: Header=BB0_28 Depth=1
	v_mov_b32_e32 v16, 0
	s_mov_b64 s[14:15], 0
	v_mov_b32_e32 v17, 0
	s_mov_b64 s[16:17], 0
.LBB0_54:                               ;   Parent Loop BB0_28 Depth=1
                                        ; =>  This Inner Loop Header: Depth=2
	s_add_u32 s20, s4, s16
	s_addc_u32 s21, s5, s17
	global_load_ubyte v8, v28, s[20:21]
	s_add_u32 s16, s16, 1
	s_addc_u32 s17, s17, 0
	s_waitcnt vmcnt(0)
	v_and_b32_e32 v27, 0xffff, v8
	v_lshlrev_b64 v[8:9], s14, v[27:28]
	s_add_u32 s14, s14, 8
	s_addc_u32 s15, s15, 0
	v_or_b32_e32 v16, v8, v16
	s_cmp_lg_u32 s18, s16
	v_or_b32_e32 v17, v9, v17
	s_cbranch_scc1 .LBB0_54
	s_branch .LBB0_57
.LBB0_55:                               ;   in Loop: Header=BB0_28 Depth=1
                                        ; implicit-def: $vgpr16_vgpr17
                                        ; implicit-def: $sgpr19
	s_branch .LBB0_58
.LBB0_56:                               ;   in Loop: Header=BB0_28 Depth=1
	v_mov_b32_e32 v16, 0
	v_mov_b32_e32 v17, 0
.LBB0_57:                               ;   in Loop: Header=BB0_28 Depth=1
	s_mov_b32 s19, 0
	s_cbranch_execnz .LBB0_59
.LBB0_58:                               ;   in Loop: Header=BB0_28 Depth=1
	global_load_dwordx2 v[16:17], v28, s[4:5]
	s_add_i32 s19, s18, -8
	s_add_u32 s4, s4, 8
	s_addc_u32 s5, s5, 0
.LBB0_59:                               ;   in Loop: Header=BB0_28 Depth=1
	s_cmp_gt_u32 s19, 7
	s_cbranch_scc1 .LBB0_63
; %bb.60:                               ;   in Loop: Header=BB0_28 Depth=1
	s_cmp_eq_u32 s19, 0
	s_cbranch_scc1 .LBB0_64
; %bb.61:                               ;   in Loop: Header=BB0_28 Depth=1
	v_mov_b32_e32 v18, 0
	s_mov_b64 s[14:15], 0
	v_mov_b32_e32 v19, 0
	s_mov_b64 s[16:17], 0
.LBB0_62:                               ;   Parent Loop BB0_28 Depth=1
                                        ; =>  This Inner Loop Header: Depth=2
	s_add_u32 s20, s4, s16
	s_addc_u32 s21, s5, s17
	global_load_ubyte v8, v28, s[20:21]
	s_add_u32 s16, s16, 1
	s_addc_u32 s17, s17, 0
	s_waitcnt vmcnt(0)
	v_and_b32_e32 v27, 0xffff, v8
	v_lshlrev_b64 v[8:9], s14, v[27:28]
	s_add_u32 s14, s14, 8
	s_addc_u32 s15, s15, 0
	v_or_b32_e32 v18, v8, v18
	s_cmp_lg_u32 s19, s16
	v_or_b32_e32 v19, v9, v19
	s_cbranch_scc1 .LBB0_62
	s_branch .LBB0_65
.LBB0_63:                               ;   in Loop: Header=BB0_28 Depth=1
                                        ; implicit-def: $sgpr18
	s_branch .LBB0_66
.LBB0_64:                               ;   in Loop: Header=BB0_28 Depth=1
	v_mov_b32_e32 v18, 0
	v_mov_b32_e32 v19, 0
.LBB0_65:                               ;   in Loop: Header=BB0_28 Depth=1
	s_mov_b32 s18, 0
	s_cbranch_execnz .LBB0_67
.LBB0_66:                               ;   in Loop: Header=BB0_28 Depth=1
	global_load_dwordx2 v[18:19], v28, s[4:5]
	s_add_i32 s18, s19, -8
	s_add_u32 s4, s4, 8
	s_addc_u32 s5, s5, 0
.LBB0_67:                               ;   in Loop: Header=BB0_28 Depth=1
	s_cmp_gt_u32 s18, 7
	s_cbranch_scc1 .LBB0_71
; %bb.68:                               ;   in Loop: Header=BB0_28 Depth=1
	s_cmp_eq_u32 s18, 0
	s_cbranch_scc1 .LBB0_72
; %bb.69:                               ;   in Loop: Header=BB0_28 Depth=1
	v_mov_b32_e32 v20, 0
	s_mov_b64 s[14:15], 0
	v_mov_b32_e32 v21, 0
	s_mov_b64 s[16:17], 0
.LBB0_70:                               ;   Parent Loop BB0_28 Depth=1
                                        ; =>  This Inner Loop Header: Depth=2
	s_add_u32 s20, s4, s16
	s_addc_u32 s21, s5, s17
	global_load_ubyte v8, v28, s[20:21]
	s_add_u32 s16, s16, 1
	s_addc_u32 s17, s17, 0
	s_waitcnt vmcnt(0)
	v_and_b32_e32 v27, 0xffff, v8
	v_lshlrev_b64 v[8:9], s14, v[27:28]
	s_add_u32 s14, s14, 8
	s_addc_u32 s15, s15, 0
	v_or_b32_e32 v20, v8, v20
	s_cmp_lg_u32 s18, s16
	v_or_b32_e32 v21, v9, v21
	s_cbranch_scc1 .LBB0_70
	s_branch .LBB0_73
.LBB0_71:                               ;   in Loop: Header=BB0_28 Depth=1
                                        ; implicit-def: $vgpr20_vgpr21
                                        ; implicit-def: $sgpr19
	s_branch .LBB0_74
.LBB0_72:                               ;   in Loop: Header=BB0_28 Depth=1
	v_mov_b32_e32 v20, 0
	v_mov_b32_e32 v21, 0
.LBB0_73:                               ;   in Loop: Header=BB0_28 Depth=1
	s_mov_b32 s19, 0
	s_cbranch_execnz .LBB0_75
.LBB0_74:                               ;   in Loop: Header=BB0_28 Depth=1
	global_load_dwordx2 v[20:21], v28, s[4:5]
	s_add_i32 s19, s18, -8
	s_add_u32 s4, s4, 8
	s_addc_u32 s5, s5, 0
.LBB0_75:                               ;   in Loop: Header=BB0_28 Depth=1
	s_cmp_gt_u32 s19, 7
	s_cbranch_scc1 .LBB0_79
; %bb.76:                               ;   in Loop: Header=BB0_28 Depth=1
	s_cmp_eq_u32 s19, 0
	s_cbranch_scc1 .LBB0_80
; %bb.77:                               ;   in Loop: Header=BB0_28 Depth=1
	v_mov_b32_e32 v22, 0
	s_mov_b64 s[14:15], 0
	v_mov_b32_e32 v23, 0
	s_mov_b64 s[16:17], s[4:5]
.LBB0_78:                               ;   Parent Loop BB0_28 Depth=1
                                        ; =>  This Inner Loop Header: Depth=2
	global_load_ubyte v8, v28, s[16:17]
	s_add_i32 s19, s19, -1
	s_waitcnt vmcnt(0)
	v_and_b32_e32 v27, 0xffff, v8
	v_lshlrev_b64 v[8:9], s14, v[27:28]
	s_add_u32 s14, s14, 8
	s_addc_u32 s15, s15, 0
	s_add_u32 s16, s16, 1
	s_addc_u32 s17, s17, 0
	v_or_b32_e32 v22, v8, v22
	s_cmp_lg_u32 s19, 0
	v_or_b32_e32 v23, v9, v23
	s_cbranch_scc1 .LBB0_78
	s_branch .LBB0_81
.LBB0_79:                               ;   in Loop: Header=BB0_28 Depth=1
	s_branch .LBB0_82
.LBB0_80:                               ;   in Loop: Header=BB0_28 Depth=1
	v_mov_b32_e32 v22, 0
	v_mov_b32_e32 v23, 0
.LBB0_81:                               ;   in Loop: Header=BB0_28 Depth=1
	s_cbranch_execnz .LBB0_83
.LBB0_82:                               ;   in Loop: Header=BB0_28 Depth=1
	global_load_dwordx2 v[22:23], v28, s[4:5]
.LBB0_83:                               ;   in Loop: Header=BB0_28 Depth=1
	v_readfirstlane_b32 s4, v35
	v_mov_b32_e32 v8, 0
	v_mov_b32_e32 v9, 0
	v_cmp_eq_u32_e64 s[4:5], s4, v35
	s_and_saveexec_b64 s[14:15], s[4:5]
	s_cbranch_execz .LBB0_89
; %bb.84:                               ;   in Loop: Header=BB0_28 Depth=1
	global_load_dwordx2 v[26:27], v28, s[6:7] offset:24 glc
	s_waitcnt vmcnt(0)
	buffer_wbinvl1_vol
	global_load_dwordx2 v[8:9], v28, s[6:7] offset:40
	global_load_dwordx2 v[24:25], v28, s[6:7]
	s_waitcnt vmcnt(1)
	v_and_b32_e32 v8, v8, v26
	v_and_b32_e32 v9, v9, v27
	v_mul_lo_u32 v9, v9, 24
	v_mul_hi_u32 v29, v8, 24
	v_mul_lo_u32 v8, v8, 24
	v_add_u32_e32 v9, v29, v9
	s_waitcnt vmcnt(0)
	v_add_co_u32_e32 v8, vcc, v24, v8
	v_addc_co_u32_e32 v9, vcc, v25, v9, vcc
	global_load_dwordx2 v[24:25], v[8:9], off glc
	s_waitcnt vmcnt(0)
	global_atomic_cmpswap_x2 v[8:9], v28, v[24:27], s[6:7] offset:24 glc
	s_waitcnt vmcnt(0)
	buffer_wbinvl1_vol
	v_cmp_ne_u64_e32 vcc, v[8:9], v[26:27]
	s_and_saveexec_b64 s[16:17], vcc
	s_cbranch_execz .LBB0_88
; %bb.85:                               ;   in Loop: Header=BB0_28 Depth=1
	s_mov_b64 s[18:19], 0
.LBB0_86:                               ;   Parent Loop BB0_28 Depth=1
                                        ; =>  This Inner Loop Header: Depth=2
	s_sleep 1
	global_load_dwordx2 v[24:25], v28, s[6:7] offset:40
	global_load_dwordx2 v[29:30], v28, s[6:7]
	v_mov_b32_e32 v27, v9
	v_mov_b32_e32 v26, v8
	s_waitcnt vmcnt(1)
	v_and_b32_e32 v8, v24, v26
	s_waitcnt vmcnt(0)
	v_mad_u64_u32 v[8:9], s[20:21], v8, 24, v[29:30]
	v_and_b32_e32 v24, v25, v27
	v_mad_u64_u32 v[24:25], s[20:21], v24, 24, v[9:10]
	v_mov_b32_e32 v9, v24
	global_load_dwordx2 v[24:25], v[8:9], off glc
	s_waitcnt vmcnt(0)
	global_atomic_cmpswap_x2 v[8:9], v28, v[24:27], s[6:7] offset:24 glc
	s_waitcnt vmcnt(0)
	buffer_wbinvl1_vol
	v_cmp_eq_u64_e32 vcc, v[8:9], v[26:27]
	s_or_b64 s[18:19], vcc, s[18:19]
	s_andn2_b64 exec, exec, s[18:19]
	s_cbranch_execnz .LBB0_86
; %bb.87:                               ;   in Loop: Header=BB0_28 Depth=1
	s_or_b64 exec, exec, s[18:19]
.LBB0_88:                               ;   in Loop: Header=BB0_28 Depth=1
	s_or_b64 exec, exec, s[16:17]
.LBB0_89:                               ;   in Loop: Header=BB0_28 Depth=1
	s_or_b64 exec, exec, s[14:15]
	global_load_dwordx2 v[29:30], v28, s[6:7] offset:40
	global_load_dwordx4 v[24:27], v28, s[6:7]
	v_readfirstlane_b32 s14, v8
	v_readfirstlane_b32 s15, v9
	s_mov_b64 s[16:17], exec
	s_waitcnt vmcnt(1)
	v_readfirstlane_b32 s18, v29
	v_readfirstlane_b32 s19, v30
	s_and_b64 s[18:19], s[14:15], s[18:19]
	s_mul_i32 s20, s19, 24
	s_mul_hi_u32 s21, s18, 24
	s_mul_i32 s22, s18, 24
	s_add_i32 s20, s21, s20
	v_mov_b32_e32 v8, s20
	s_waitcnt vmcnt(0)
	v_add_co_u32_e32 v29, vcc, s22, v24
	v_addc_co_u32_e32 v30, vcc, v25, v8, vcc
	s_and_saveexec_b64 s[20:21], s[4:5]
	s_cbranch_execz .LBB0_91
; %bb.90:                               ;   in Loop: Header=BB0_28 Depth=1
	v_mov_b32_e32 v8, s16
	v_mov_b32_e32 v9, s17
	global_store_dwordx4 v[29:30], v[8:11], off offset:8
.LBB0_91:                               ;   in Loop: Header=BB0_28 Depth=1
	s_or_b64 exec, exec, s[20:21]
	s_lshl_b64 s[16:17], s[18:19], 12
	v_mov_b32_e32 v8, s17
	v_add_co_u32_e32 v26, vcc, s16, v26
	v_addc_co_u32_e32 v32, vcc, v27, v8, vcc
	v_cmp_gt_u64_e64 vcc, s[10:11], 56
	v_or_b32_e32 v9, v2, v31
	s_lshl_b32 s16, s12, 2
	v_cndmask_b32_e32 v2, v9, v2, vcc
	s_add_i32 s16, s16, 28
	v_or_b32_e32 v8, 0, v3
	s_and_b32 s16, s16, 0x1e0
	v_and_b32_e32 v2, 0xffffff1f, v2
	v_cndmask_b32_e32 v3, v8, v3, vcc
	v_or_b32_e32 v2, s16, v2
	v_readfirstlane_b32 s16, v26
	v_readfirstlane_b32 s17, v32
	s_nop 4
	global_store_dwordx4 v34, v[2:5], s[16:17]
	global_store_dwordx4 v34, v[12:15], s[16:17] offset:16
	global_store_dwordx4 v34, v[16:19], s[16:17] offset:32
	;; [unrolled: 1-line block ×3, first 2 shown]
	s_and_saveexec_b64 s[16:17], s[4:5]
	s_cbranch_execz .LBB0_99
; %bb.92:                               ;   in Loop: Header=BB0_28 Depth=1
	global_load_dwordx2 v[14:15], v28, s[6:7] offset:32 glc
	global_load_dwordx2 v[2:3], v28, s[6:7] offset:40
	v_mov_b32_e32 v12, s14
	v_mov_b32_e32 v13, s15
	s_waitcnt vmcnt(0)
	v_readfirstlane_b32 s18, v2
	v_readfirstlane_b32 s19, v3
	s_and_b64 s[18:19], s[18:19], s[14:15]
	s_mul_i32 s19, s19, 24
	s_mul_hi_u32 s20, s18, 24
	s_mul_i32 s18, s18, 24
	s_add_i32 s19, s20, s19
	v_mov_b32_e32 v2, s19
	v_add_co_u32_e32 v8, vcc, s18, v24
	v_addc_co_u32_e32 v9, vcc, v25, v2, vcc
	global_store_dwordx2 v[8:9], v[14:15], off
	s_waitcnt vmcnt(0)
	global_atomic_cmpswap_x2 v[4:5], v28, v[12:15], s[6:7] offset:32 glc
	s_waitcnt vmcnt(0)
	v_cmp_ne_u64_e32 vcc, v[4:5], v[14:15]
	s_and_saveexec_b64 s[18:19], vcc
	s_cbranch_execz .LBB0_95
; %bb.93:                               ;   in Loop: Header=BB0_28 Depth=1
	s_mov_b64 s[20:21], 0
.LBB0_94:                               ;   Parent Loop BB0_28 Depth=1
                                        ; =>  This Inner Loop Header: Depth=2
	s_sleep 1
	global_store_dwordx2 v[8:9], v[4:5], off
	v_mov_b32_e32 v2, s14
	v_mov_b32_e32 v3, s15
	s_waitcnt vmcnt(0)
	global_atomic_cmpswap_x2 v[2:3], v28, v[2:5], s[6:7] offset:32 glc
	s_waitcnt vmcnt(0)
	v_cmp_eq_u64_e32 vcc, v[2:3], v[4:5]
	v_mov_b32_e32 v5, v3
	s_or_b64 s[20:21], vcc, s[20:21]
	v_mov_b32_e32 v4, v2
	s_andn2_b64 exec, exec, s[20:21]
	s_cbranch_execnz .LBB0_94
.LBB0_95:                               ;   in Loop: Header=BB0_28 Depth=1
	s_or_b64 exec, exec, s[18:19]
	global_load_dwordx2 v[2:3], v28, s[6:7] offset:16
	s_mov_b64 s[20:21], exec
	v_mbcnt_lo_u32_b32 v4, s20, 0
	v_mbcnt_hi_u32_b32 v4, s21, v4
	v_cmp_eq_u32_e32 vcc, 0, v4
	s_and_saveexec_b64 s[18:19], vcc
	s_cbranch_execz .LBB0_97
; %bb.96:                               ;   in Loop: Header=BB0_28 Depth=1
	s_bcnt1_i32_b64 s20, s[20:21]
	v_mov_b32_e32 v27, s20
	s_waitcnt vmcnt(0)
	global_atomic_add_x2 v[2:3], v[27:28], off offset:8
.LBB0_97:                               ;   in Loop: Header=BB0_28 Depth=1
	s_or_b64 exec, exec, s[18:19]
	s_waitcnt vmcnt(0)
	global_load_dwordx2 v[4:5], v[2:3], off offset:16
	s_waitcnt vmcnt(0)
	v_cmp_eq_u64_e32 vcc, 0, v[4:5]
	s_cbranch_vccnz .LBB0_99
; %bb.98:                               ;   in Loop: Header=BB0_28 Depth=1
	global_load_dword v27, v[2:3], off offset:24
	s_waitcnt vmcnt(0)
	v_and_b32_e32 v2, 0xffffff, v27
	v_readfirstlane_b32 m0, v2
	global_store_dwordx2 v[4:5], v[27:28], off
	s_sendmsg sendmsg(MSG_INTERRUPT)
.LBB0_99:                               ;   in Loop: Header=BB0_28 Depth=1
	s_or_b64 exec, exec, s[16:17]
	v_add_co_u32_e32 v2, vcc, v26, v34
	v_addc_co_u32_e32 v3, vcc, 0, v32, vcc
	s_branch .LBB0_103
.LBB0_100:                              ;   in Loop: Header=BB0_103 Depth=2
	s_or_b64 exec, exec, s[16:17]
	v_readfirstlane_b32 s16, v4
	s_cmp_eq_u32 s16, 0
	s_cbranch_scc1 .LBB0_102
; %bb.101:                              ;   in Loop: Header=BB0_103 Depth=2
	s_sleep 1
	s_cbranch_execnz .LBB0_103
	s_branch .LBB0_105
.LBB0_102:                              ;   in Loop: Header=BB0_28 Depth=1
	s_branch .LBB0_105
.LBB0_103:                              ;   Parent Loop BB0_28 Depth=1
                                        ; =>  This Inner Loop Header: Depth=2
	v_mov_b32_e32 v4, 1
	s_and_saveexec_b64 s[16:17], s[4:5]
	s_cbranch_execz .LBB0_100
; %bb.104:                              ;   in Loop: Header=BB0_103 Depth=2
	global_load_dword v4, v[29:30], off offset:20 glc
	s_waitcnt vmcnt(0)
	buffer_wbinvl1_vol
	v_and_b32_e32 v4, 1, v4
	s_branch .LBB0_100
.LBB0_105:                              ;   in Loop: Header=BB0_28 Depth=1
	global_load_dwordx4 v[2:5], v[2:3], off
	s_and_saveexec_b64 s[16:17], s[4:5]
	s_cbranch_execz .LBB0_27
; %bb.106:                              ;   in Loop: Header=BB0_28 Depth=1
	global_load_dwordx2 v[4:5], v28, s[6:7] offset:40
	global_load_dwordx2 v[8:9], v28, s[6:7] offset:24 glc
	global_load_dwordx2 v[15:16], v28, s[6:7]
	v_mov_b32_e32 v13, s15
	s_waitcnt vmcnt(2)
	v_add_co_u32_e32 v14, vcc, 1, v4
	v_addc_co_u32_e32 v17, vcc, 0, v5, vcc
	v_add_co_u32_e32 v12, vcc, s14, v14
	v_addc_co_u32_e32 v13, vcc, v17, v13, vcc
	v_cmp_eq_u64_e32 vcc, 0, v[12:13]
	v_cndmask_b32_e32 v13, v13, v17, vcc
	v_cndmask_b32_e32 v12, v12, v14, vcc
	v_and_b32_e32 v5, v13, v5
	v_and_b32_e32 v4, v12, v4
	v_mul_lo_u32 v5, v5, 24
	v_mul_hi_u32 v17, v4, 24
	v_mul_lo_u32 v4, v4, 24
	s_waitcnt vmcnt(1)
	v_mov_b32_e32 v14, v8
	v_add_u32_e32 v5, v17, v5
	s_waitcnt vmcnt(0)
	v_add_co_u32_e32 v4, vcc, v15, v4
	v_addc_co_u32_e32 v5, vcc, v16, v5, vcc
	global_store_dwordx2 v[4:5], v[8:9], off
	v_mov_b32_e32 v15, v9
	s_waitcnt vmcnt(0)
	global_atomic_cmpswap_x2 v[14:15], v28, v[12:15], s[6:7] offset:24 glc
	s_waitcnt vmcnt(0)
	v_cmp_ne_u64_e32 vcc, v[14:15], v[8:9]
	s_and_b64 exec, exec, vcc
	s_cbranch_execz .LBB0_27
; %bb.107:                              ;   in Loop: Header=BB0_28 Depth=1
	s_mov_b64 s[4:5], 0
.LBB0_108:                              ;   Parent Loop BB0_28 Depth=1
                                        ; =>  This Inner Loop Header: Depth=2
	s_sleep 1
	global_store_dwordx2 v[4:5], v[14:15], off
	s_waitcnt vmcnt(0)
	global_atomic_cmpswap_x2 v[8:9], v28, v[12:15], s[6:7] offset:24 glc
	s_waitcnt vmcnt(0)
	v_cmp_eq_u64_e32 vcc, v[8:9], v[14:15]
	v_mov_b32_e32 v15, v9
	s_or_b64 s[4:5], vcc, s[4:5]
	v_mov_b32_e32 v14, v8
	s_andn2_b64 exec, exec, s[4:5]
	s_cbranch_execnz .LBB0_108
	s_branch .LBB0_27
.LBB0_109:
	s_branch .LBB0_137
.LBB0_110:
                                        ; implicit-def: $vgpr2_vgpr3
	s_cbranch_execz .LBB0_137
; %bb.111:
	v_readfirstlane_b32 s4, v35
	v_mov_b32_e32 v9, 0
	v_mov_b32_e32 v10, 0
	v_cmp_eq_u32_e64 s[4:5], s4, v35
	s_and_saveexec_b64 s[8:9], s[4:5]
	s_cbranch_execz .LBB0_117
; %bb.112:
	s_waitcnt vmcnt(0)
	v_mov_b32_e32 v2, 0
	global_load_dwordx2 v[11:12], v2, s[6:7] offset:24 glc
	s_waitcnt vmcnt(0)
	buffer_wbinvl1_vol
	global_load_dwordx2 v[3:4], v2, s[6:7] offset:40
	global_load_dwordx2 v[8:9], v2, s[6:7]
	s_waitcnt vmcnt(1)
	v_and_b32_e32 v3, v3, v11
	v_and_b32_e32 v4, v4, v12
	v_mul_lo_u32 v4, v4, 24
	v_mul_hi_u32 v5, v3, 24
	v_mul_lo_u32 v3, v3, 24
	v_add_u32_e32 v4, v5, v4
	s_waitcnt vmcnt(0)
	v_add_co_u32_e32 v3, vcc, v8, v3
	v_addc_co_u32_e32 v4, vcc, v9, v4, vcc
	global_load_dwordx2 v[9:10], v[3:4], off glc
	s_waitcnt vmcnt(0)
	global_atomic_cmpswap_x2 v[9:10], v2, v[9:12], s[6:7] offset:24 glc
	s_waitcnt vmcnt(0)
	buffer_wbinvl1_vol
	v_cmp_ne_u64_e32 vcc, v[9:10], v[11:12]
	s_and_saveexec_b64 s[10:11], vcc
	s_cbranch_execz .LBB0_116
; %bb.113:
	s_mov_b64 s[12:13], 0
.LBB0_114:                              ; =>This Inner Loop Header: Depth=1
	s_sleep 1
	global_load_dwordx2 v[3:4], v2, s[6:7] offset:40
	global_load_dwordx2 v[13:14], v2, s[6:7]
	v_mov_b32_e32 v12, v10
	v_mov_b32_e32 v11, v9
	s_waitcnt vmcnt(1)
	v_and_b32_e32 v3, v3, v11
	s_waitcnt vmcnt(0)
	v_mad_u64_u32 v[8:9], s[14:15], v3, 24, v[13:14]
	v_and_b32_e32 v4, v4, v12
	v_mov_b32_e32 v3, v9
	v_mad_u64_u32 v[3:4], s[14:15], v4, 24, v[3:4]
	v_mov_b32_e32 v9, v3
	global_load_dwordx2 v[9:10], v[8:9], off glc
	s_waitcnt vmcnt(0)
	global_atomic_cmpswap_x2 v[9:10], v2, v[9:12], s[6:7] offset:24 glc
	s_waitcnt vmcnt(0)
	buffer_wbinvl1_vol
	v_cmp_eq_u64_e32 vcc, v[9:10], v[11:12]
	s_or_b64 s[12:13], vcc, s[12:13]
	s_andn2_b64 exec, exec, s[12:13]
	s_cbranch_execnz .LBB0_114
; %bb.115:
	s_or_b64 exec, exec, s[12:13]
.LBB0_116:
	s_or_b64 exec, exec, s[10:11]
.LBB0_117:
	s_or_b64 exec, exec, s[8:9]
	v_mov_b32_e32 v8, 0
	global_load_dwordx2 v[11:12], v8, s[6:7] offset:40
	global_load_dwordx4 v[2:5], v8, s[6:7]
	v_readfirstlane_b32 s8, v9
	v_readfirstlane_b32 s9, v10
	s_mov_b64 s[10:11], exec
	s_waitcnt vmcnt(1)
	v_readfirstlane_b32 s12, v11
	v_readfirstlane_b32 s13, v12
	s_and_b64 s[12:13], s[8:9], s[12:13]
	s_mul_i32 s14, s13, 24
	s_mul_hi_u32 s15, s12, 24
	s_mul_i32 s16, s12, 24
	s_add_i32 s14, s15, s14
	v_mov_b32_e32 v9, s14
	s_waitcnt vmcnt(0)
	v_add_co_u32_e32 v10, vcc, s16, v2
	v_addc_co_u32_e32 v11, vcc, v3, v9, vcc
	s_and_saveexec_b64 s[14:15], s[4:5]
	s_cbranch_execz .LBB0_119
; %bb.118:
	v_mov_b32_e32 v13, s11
	v_mov_b32_e32 v12, s10
	;; [unrolled: 1-line block ×4, first 2 shown]
	global_store_dwordx4 v[10:11], v[12:15], off offset:8
.LBB0_119:
	s_or_b64 exec, exec, s[14:15]
	s_lshl_b64 s[10:11], s[12:13], 12
	v_mov_b32_e32 v9, s11
	v_add_co_u32_e32 v4, vcc, s10, v4
	v_addc_co_u32_e32 v5, vcc, v5, v9, vcc
	s_movk_i32 s10, 0xff1f
	v_and_or_b32 v6, v6, s10, 32
	v_add_co_u32_e32 v12, vcc, v4, v34
	s_mov_b32 s12, 0
	v_mov_b32_e32 v9, v8
	v_readfirstlane_b32 s10, v4
	v_readfirstlane_b32 s11, v5
	v_addc_co_u32_e32 v13, vcc, 0, v5, vcc
	s_mov_b32 s13, s12
	s_mov_b32 s14, s12
	;; [unrolled: 1-line block ×3, first 2 shown]
	s_nop 0
	global_store_dwordx4 v34, v[6:9], s[10:11]
	v_mov_b32_e32 v4, s12
	v_mov_b32_e32 v5, s13
	v_mov_b32_e32 v6, s14
	v_mov_b32_e32 v7, s15
	global_store_dwordx4 v34, v[4:7], s[10:11] offset:16
	global_store_dwordx4 v34, v[4:7], s[10:11] offset:32
	;; [unrolled: 1-line block ×3, first 2 shown]
	s_and_saveexec_b64 s[10:11], s[4:5]
	s_cbranch_execz .LBB0_127
; %bb.120:
	v_mov_b32_e32 v8, 0
	global_load_dwordx2 v[16:17], v8, s[6:7] offset:32 glc
	global_load_dwordx2 v[4:5], v8, s[6:7] offset:40
	v_mov_b32_e32 v14, s8
	v_mov_b32_e32 v15, s9
	s_waitcnt vmcnt(0)
	v_readfirstlane_b32 s12, v4
	v_readfirstlane_b32 s13, v5
	s_and_b64 s[12:13], s[12:13], s[8:9]
	s_mul_i32 s13, s13, 24
	s_mul_hi_u32 s14, s12, 24
	s_mul_i32 s12, s12, 24
	s_add_i32 s13, s14, s13
	v_mov_b32_e32 v4, s13
	v_add_co_u32_e32 v6, vcc, s12, v2
	v_addc_co_u32_e32 v7, vcc, v3, v4, vcc
	global_store_dwordx2 v[6:7], v[16:17], off
	s_waitcnt vmcnt(0)
	global_atomic_cmpswap_x2 v[4:5], v8, v[14:17], s[6:7] offset:32 glc
	s_waitcnt vmcnt(0)
	v_cmp_ne_u64_e32 vcc, v[4:5], v[16:17]
	s_and_saveexec_b64 s[12:13], vcc
	s_cbranch_execz .LBB0_123
; %bb.121:
	s_mov_b64 s[14:15], 0
.LBB0_122:                              ; =>This Inner Loop Header: Depth=1
	s_sleep 1
	global_store_dwordx2 v[6:7], v[4:5], off
	v_mov_b32_e32 v2, s8
	v_mov_b32_e32 v3, s9
	s_waitcnt vmcnt(0)
	global_atomic_cmpswap_x2 v[2:3], v8, v[2:5], s[6:7] offset:32 glc
	s_waitcnt vmcnt(0)
	v_cmp_eq_u64_e32 vcc, v[2:3], v[4:5]
	v_mov_b32_e32 v5, v3
	s_or_b64 s[14:15], vcc, s[14:15]
	v_mov_b32_e32 v4, v2
	s_andn2_b64 exec, exec, s[14:15]
	s_cbranch_execnz .LBB0_122
.LBB0_123:
	s_or_b64 exec, exec, s[12:13]
	v_mov_b32_e32 v5, 0
	global_load_dwordx2 v[2:3], v5, s[6:7] offset:16
	s_mov_b64 s[12:13], exec
	v_mbcnt_lo_u32_b32 v4, s12, 0
	v_mbcnt_hi_u32_b32 v4, s13, v4
	v_cmp_eq_u32_e32 vcc, 0, v4
	s_and_saveexec_b64 s[14:15], vcc
	s_cbranch_execz .LBB0_125
; %bb.124:
	s_bcnt1_i32_b64 s12, s[12:13]
	v_mov_b32_e32 v4, s12
	s_waitcnt vmcnt(0)
	global_atomic_add_x2 v[2:3], v[4:5], off offset:8
.LBB0_125:
	s_or_b64 exec, exec, s[14:15]
	s_waitcnt vmcnt(0)
	global_load_dwordx2 v[4:5], v[2:3], off offset:16
	s_waitcnt vmcnt(0)
	v_cmp_eq_u64_e32 vcc, 0, v[4:5]
	s_cbranch_vccnz .LBB0_127
; %bb.126:
	global_load_dword v2, v[2:3], off offset:24
	v_mov_b32_e32 v3, 0
	s_waitcnt vmcnt(0)
	global_store_dwordx2 v[4:5], v[2:3], off
	v_and_b32_e32 v2, 0xffffff, v2
	v_readfirstlane_b32 m0, v2
	s_sendmsg sendmsg(MSG_INTERRUPT)
.LBB0_127:
	s_or_b64 exec, exec, s[10:11]
	s_branch .LBB0_131
.LBB0_128:                              ;   in Loop: Header=BB0_131 Depth=1
	s_or_b64 exec, exec, s[10:11]
	v_readfirstlane_b32 s10, v2
	s_cmp_eq_u32 s10, 0
	s_cbranch_scc1 .LBB0_130
; %bb.129:                              ;   in Loop: Header=BB0_131 Depth=1
	s_sleep 1
	s_cbranch_execnz .LBB0_131
	s_branch .LBB0_133
.LBB0_130:
	s_branch .LBB0_133
.LBB0_131:                              ; =>This Inner Loop Header: Depth=1
	v_mov_b32_e32 v2, 1
	s_and_saveexec_b64 s[10:11], s[4:5]
	s_cbranch_execz .LBB0_128
; %bb.132:                              ;   in Loop: Header=BB0_131 Depth=1
	global_load_dword v2, v[10:11], off offset:20 glc
	s_waitcnt vmcnt(0)
	buffer_wbinvl1_vol
	v_and_b32_e32 v2, 1, v2
	s_branch .LBB0_128
.LBB0_133:
	global_load_dwordx2 v[2:3], v[12:13], off
	s_and_saveexec_b64 s[10:11], s[4:5]
	s_cbranch_execz .LBB0_136
; %bb.134:
	v_mov_b32_e32 v10, 0
	global_load_dwordx2 v[6:7], v10, s[6:7] offset:40
	global_load_dwordx2 v[11:12], v10, s[6:7] offset:24 glc
	global_load_dwordx2 v[8:9], v10, s[6:7]
	v_mov_b32_e32 v5, s9
	s_mov_b64 s[4:5], 0
	s_waitcnt vmcnt(2)
	v_add_co_u32_e32 v13, vcc, 1, v6
	v_addc_co_u32_e32 v14, vcc, 0, v7, vcc
	v_add_co_u32_e32 v4, vcc, s8, v13
	v_addc_co_u32_e32 v5, vcc, v14, v5, vcc
	v_cmp_eq_u64_e32 vcc, 0, v[4:5]
	v_cndmask_b32_e32 v5, v5, v14, vcc
	v_cndmask_b32_e32 v4, v4, v13, vcc
	v_and_b32_e32 v7, v5, v7
	v_and_b32_e32 v6, v4, v6
	v_mul_lo_u32 v7, v7, 24
	v_mul_hi_u32 v13, v6, 24
	v_mul_lo_u32 v14, v6, 24
	s_waitcnt vmcnt(1)
	v_mov_b32_e32 v6, v11
	v_add_u32_e32 v7, v13, v7
	s_waitcnt vmcnt(0)
	v_add_co_u32_e32 v8, vcc, v8, v14
	v_addc_co_u32_e32 v9, vcc, v9, v7, vcc
	global_store_dwordx2 v[8:9], v[11:12], off
	v_mov_b32_e32 v7, v12
	s_waitcnt vmcnt(0)
	global_atomic_cmpswap_x2 v[6:7], v10, v[4:7], s[6:7] offset:24 glc
	s_waitcnt vmcnt(0)
	v_cmp_ne_u64_e32 vcc, v[6:7], v[11:12]
	s_and_b64 exec, exec, vcc
	s_cbranch_execz .LBB0_136
.LBB0_135:                              ; =>This Inner Loop Header: Depth=1
	s_sleep 1
	global_store_dwordx2 v[8:9], v[6:7], off
	s_waitcnt vmcnt(0)
	global_atomic_cmpswap_x2 v[11:12], v10, v[4:7], s[6:7] offset:24 glc
	s_waitcnt vmcnt(0)
	v_cmp_eq_u64_e32 vcc, v[11:12], v[6:7]
	v_mov_b32_e32 v6, v11
	s_or_b64 s[4:5], vcc, s[4:5]
	v_mov_b32_e32 v7, v12
	s_andn2_b64 exec, exec, s[4:5]
	s_cbranch_execnz .LBB0_135
.LBB0_136:
	s_or_b64 exec, exec, s[10:11]
.LBB0_137:
	v_cmp_ne_u64_e32 vcc, 0, v[0:1]
	v_mov_b32_e32 v26, 0
	v_mov_b32_e32 v27, 0
	s_mov_b64 s[10:11], 0
	s_and_saveexec_b64 s[8:9], vcc
	s_cbranch_execnz .LBB0_162
; %bb.138:
	s_or_b64 exec, exec, s[8:9]
	s_and_saveexec_b64 s[4:5], vcc
	s_xor_b64 s[8:9], exec, s[4:5]
	s_cbranch_execnz .LBB0_165
.LBB0_139:
	s_andn2_saveexec_b64 s[8:9], s[8:9]
	s_cbranch_execz .LBB0_254
.LBB0_140:
	v_readfirstlane_b32 s4, v35
	v_mov_b32_e32 v0, 0
	v_mov_b32_e32 v1, 0
	v_cmp_eq_u32_e64 s[4:5], s4, v35
	s_and_saveexec_b64 s[10:11], s[4:5]
	s_cbranch_execz .LBB0_146
; %bb.141:
	s_waitcnt vmcnt(0)
	v_mov_b32_e32 v4, 0
	global_load_dwordx2 v[7:8], v4, s[6:7] offset:24 glc
	s_waitcnt vmcnt(0)
	buffer_wbinvl1_vol
	global_load_dwordx2 v[0:1], v4, s[6:7] offset:40
	global_load_dwordx2 v[5:6], v4, s[6:7]
	s_waitcnt vmcnt(1)
	v_and_b32_e32 v0, v0, v7
	v_and_b32_e32 v1, v1, v8
	v_mul_lo_u32 v1, v1, 24
	v_mul_hi_u32 v9, v0, 24
	v_mul_lo_u32 v0, v0, 24
	v_add_u32_e32 v1, v9, v1
	s_waitcnt vmcnt(0)
	v_add_co_u32_e32 v0, vcc, v5, v0
	v_addc_co_u32_e32 v1, vcc, v6, v1, vcc
	global_load_dwordx2 v[5:6], v[0:1], off glc
	s_waitcnt vmcnt(0)
	global_atomic_cmpswap_x2 v[0:1], v4, v[5:8], s[6:7] offset:24 glc
	s_waitcnt vmcnt(0)
	buffer_wbinvl1_vol
	v_cmp_ne_u64_e32 vcc, v[0:1], v[7:8]
	s_and_saveexec_b64 s[12:13], vcc
	s_cbranch_execz .LBB0_145
; %bb.142:
	s_mov_b64 s[14:15], 0
.LBB0_143:                              ; =>This Inner Loop Header: Depth=1
	s_sleep 1
	global_load_dwordx2 v[5:6], v4, s[6:7] offset:40
	global_load_dwordx2 v[9:10], v4, s[6:7]
	v_mov_b32_e32 v8, v1
	v_mov_b32_e32 v7, v0
	s_waitcnt vmcnt(1)
	v_and_b32_e32 v0, v5, v7
	s_waitcnt vmcnt(0)
	v_mad_u64_u32 v[0:1], s[16:17], v0, 24, v[9:10]
	v_and_b32_e32 v5, v6, v8
	v_mad_u64_u32 v[5:6], s[16:17], v5, 24, v[1:2]
	v_mov_b32_e32 v1, v5
	global_load_dwordx2 v[5:6], v[0:1], off glc
	s_waitcnt vmcnt(0)
	global_atomic_cmpswap_x2 v[0:1], v4, v[5:8], s[6:7] offset:24 glc
	s_waitcnt vmcnt(0)
	buffer_wbinvl1_vol
	v_cmp_eq_u64_e32 vcc, v[0:1], v[7:8]
	s_or_b64 s[14:15], vcc, s[14:15]
	s_andn2_b64 exec, exec, s[14:15]
	s_cbranch_execnz .LBB0_143
; %bb.144:
	s_or_b64 exec, exec, s[14:15]
.LBB0_145:
	s_or_b64 exec, exec, s[12:13]
.LBB0_146:
	s_or_b64 exec, exec, s[10:11]
	s_waitcnt vmcnt(0)
	v_mov_b32_e32 v4, 0
	global_load_dwordx2 v[10:11], v4, s[6:7] offset:40
	global_load_dwordx4 v[6:9], v4, s[6:7]
	v_readfirstlane_b32 s10, v0
	v_readfirstlane_b32 s11, v1
	s_mov_b64 s[12:13], exec
	s_waitcnt vmcnt(1)
	v_readfirstlane_b32 s14, v10
	v_readfirstlane_b32 s15, v11
	s_and_b64 s[14:15], s[10:11], s[14:15]
	s_mul_i32 s16, s15, 24
	s_mul_hi_u32 s17, s14, 24
	s_mul_i32 s18, s14, 24
	s_add_i32 s16, s17, s16
	v_mov_b32_e32 v0, s16
	s_waitcnt vmcnt(0)
	v_add_co_u32_e32 v10, vcc, s18, v6
	v_addc_co_u32_e32 v11, vcc, v7, v0, vcc
	s_and_saveexec_b64 s[16:17], s[4:5]
	s_cbranch_execz .LBB0_148
; %bb.147:
	v_mov_b32_e32 v12, s12
	v_mov_b32_e32 v13, s13
	;; [unrolled: 1-line block ×4, first 2 shown]
	global_store_dwordx4 v[10:11], v[12:15], off offset:8
.LBB0_148:
	s_or_b64 exec, exec, s[16:17]
	s_lshl_b64 s[12:13], s[14:15], 12
	v_mov_b32_e32 v0, s13
	v_add_co_u32_e32 v1, vcc, s12, v8
	v_addc_co_u32_e32 v0, vcc, v9, v0, vcc
	s_movk_i32 s12, 0xff1d
	v_and_or_b32 v2, v2, s12, 34
	s_mov_b32 s12, 0
	v_mov_b32_e32 v5, v4
	v_readfirstlane_b32 s16, v1
	v_readfirstlane_b32 s17, v0
	s_mov_b32 s13, s12
	s_mov_b32 s14, s12
	;; [unrolled: 1-line block ×3, first 2 shown]
	s_nop 1
	global_store_dwordx4 v34, v[2:5], s[16:17]
	v_mov_b32_e32 v0, s12
	v_mov_b32_e32 v1, s13
	;; [unrolled: 1-line block ×4, first 2 shown]
	global_store_dwordx4 v34, v[0:3], s[16:17] offset:16
	global_store_dwordx4 v34, v[0:3], s[16:17] offset:32
	;; [unrolled: 1-line block ×3, first 2 shown]
	s_and_saveexec_b64 s[12:13], s[4:5]
	s_cbranch_execz .LBB0_156
; %bb.149:
	v_mov_b32_e32 v8, 0
	global_load_dwordx2 v[14:15], v8, s[6:7] offset:32 glc
	global_load_dwordx2 v[0:1], v8, s[6:7] offset:40
	v_mov_b32_e32 v12, s10
	v_mov_b32_e32 v13, s11
	s_waitcnt vmcnt(0)
	v_readfirstlane_b32 s14, v0
	v_readfirstlane_b32 s15, v1
	s_and_b64 s[14:15], s[14:15], s[10:11]
	s_mul_i32 s15, s15, 24
	s_mul_hi_u32 s16, s14, 24
	s_mul_i32 s14, s14, 24
	s_add_i32 s15, s16, s15
	v_mov_b32_e32 v0, s15
	v_add_co_u32_e32 v4, vcc, s14, v6
	v_addc_co_u32_e32 v5, vcc, v7, v0, vcc
	global_store_dwordx2 v[4:5], v[14:15], off
	s_waitcnt vmcnt(0)
	global_atomic_cmpswap_x2 v[2:3], v8, v[12:15], s[6:7] offset:32 glc
	s_waitcnt vmcnt(0)
	v_cmp_ne_u64_e32 vcc, v[2:3], v[14:15]
	s_and_saveexec_b64 s[14:15], vcc
	s_cbranch_execz .LBB0_152
; %bb.150:
	s_mov_b64 s[16:17], 0
.LBB0_151:                              ; =>This Inner Loop Header: Depth=1
	s_sleep 1
	global_store_dwordx2 v[4:5], v[2:3], off
	v_mov_b32_e32 v0, s10
	v_mov_b32_e32 v1, s11
	s_waitcnt vmcnt(0)
	global_atomic_cmpswap_x2 v[0:1], v8, v[0:3], s[6:7] offset:32 glc
	s_waitcnt vmcnt(0)
	v_cmp_eq_u64_e32 vcc, v[0:1], v[2:3]
	v_mov_b32_e32 v3, v1
	s_or_b64 s[16:17], vcc, s[16:17]
	v_mov_b32_e32 v2, v0
	s_andn2_b64 exec, exec, s[16:17]
	s_cbranch_execnz .LBB0_151
.LBB0_152:
	s_or_b64 exec, exec, s[14:15]
	v_mov_b32_e32 v3, 0
	global_load_dwordx2 v[0:1], v3, s[6:7] offset:16
	s_mov_b64 s[14:15], exec
	v_mbcnt_lo_u32_b32 v2, s14, 0
	v_mbcnt_hi_u32_b32 v2, s15, v2
	v_cmp_eq_u32_e32 vcc, 0, v2
	s_and_saveexec_b64 s[16:17], vcc
	s_cbranch_execz .LBB0_154
; %bb.153:
	s_bcnt1_i32_b64 s14, s[14:15]
	v_mov_b32_e32 v2, s14
	s_waitcnt vmcnt(0)
	global_atomic_add_x2 v[0:1], v[2:3], off offset:8
.LBB0_154:
	s_or_b64 exec, exec, s[16:17]
	s_waitcnt vmcnt(0)
	global_load_dwordx2 v[2:3], v[0:1], off offset:16
	s_waitcnt vmcnt(0)
	v_cmp_eq_u64_e32 vcc, 0, v[2:3]
	s_cbranch_vccnz .LBB0_156
; %bb.155:
	global_load_dword v0, v[0:1], off offset:24
	v_mov_b32_e32 v1, 0
	s_waitcnt vmcnt(0)
	global_store_dwordx2 v[2:3], v[0:1], off
	v_and_b32_e32 v0, 0xffffff, v0
	v_readfirstlane_b32 m0, v0
	s_sendmsg sendmsg(MSG_INTERRUPT)
.LBB0_156:
	s_or_b64 exec, exec, s[12:13]
	s_branch .LBB0_160
.LBB0_157:                              ;   in Loop: Header=BB0_160 Depth=1
	s_or_b64 exec, exec, s[12:13]
	v_readfirstlane_b32 s12, v0
	s_cmp_eq_u32 s12, 0
	s_cbranch_scc1 .LBB0_159
; %bb.158:                              ;   in Loop: Header=BB0_160 Depth=1
	s_sleep 1
	s_cbranch_execnz .LBB0_160
	s_branch .LBB0_249
.LBB0_159:
	s_branch .LBB0_249
.LBB0_160:                              ; =>This Inner Loop Header: Depth=1
	v_mov_b32_e32 v0, 1
	s_and_saveexec_b64 s[12:13], s[4:5]
	s_cbranch_execz .LBB0_157
; %bb.161:                              ;   in Loop: Header=BB0_160 Depth=1
	global_load_dword v0, v[10:11], off offset:20 glc
	s_waitcnt vmcnt(0)
	buffer_wbinvl1_vol
	v_and_b32_e32 v0, 1, v0
	s_branch .LBB0_157
.LBB0_162:
	s_waitcnt vmcnt(0)
	v_add_co_u32_e64 v4, s[4:5], -1, v0
	v_addc_co_u32_e64 v5, s[4:5], -1, v1, s[4:5]
.LBB0_163:                              ; =>This Inner Loop Header: Depth=1
	flat_load_ubyte v8, v[4:5] offset:1
	v_add_co_u32_e64 v6, s[4:5], 1, v4
	v_addc_co_u32_e64 v7, s[4:5], 0, v5, s[4:5]
	v_mov_b32_e32 v4, v6
	v_mov_b32_e32 v5, v7
	s_waitcnt vmcnt(0) lgkmcnt(0)
	v_cmp_eq_u16_e64 s[4:5], 0, v8
	s_or_b64 s[10:11], s[4:5], s[10:11]
	s_andn2_b64 exec, exec, s[10:11]
	s_cbranch_execnz .LBB0_163
; %bb.164:
	s_or_b64 exec, exec, s[10:11]
	v_sub_co_u32_e64 v4, s[4:5], v6, v0
	v_subb_co_u32_e64 v5, s[4:5], v7, v1, s[4:5]
	v_add_co_u32_e64 v26, s[4:5], 1, v4
	v_addc_co_u32_e64 v27, s[4:5], 0, v5, s[4:5]
	s_or_b64 exec, exec, s[8:9]
	s_and_saveexec_b64 s[4:5], vcc
	s_xor_b64 s[8:9], exec, s[4:5]
	s_cbranch_execz .LBB0_139
.LBB0_165:
	s_waitcnt vmcnt(0)
	v_and_b32_e32 v2, -3, v2
	s_mov_b64 s[10:11], 0
	s_mov_b32 s20, 0
	v_mov_b32_e32 v29, 0
	s_movk_i32 s21, 0xff1f
	v_mov_b32_e32 v8, 2
	v_mov_b32_e32 v9, 1
	s_branch .LBB0_167
.LBB0_166:                              ;   in Loop: Header=BB0_167 Depth=1
	s_or_b64 exec, exec, s[14:15]
	v_sub_co_u32_e32 v26, vcc, v26, v30
	v_subb_co_u32_e32 v27, vcc, v27, v31, vcc
	v_cmp_eq_u64_e32 vcc, 0, v[26:27]
	s_or_b64 s[10:11], vcc, s[10:11]
	v_add_co_u32_e32 v0, vcc, v0, v30
	v_addc_co_u32_e32 v1, vcc, v1, v31, vcc
	s_andn2_b64 exec, exec, s[10:11]
	s_cbranch_execz .LBB0_253
.LBB0_167:                              ; =>This Loop Header: Depth=1
                                        ;     Child Loop BB0_170 Depth 2
                                        ;     Child Loop BB0_178 Depth 2
	;; [unrolled: 1-line block ×11, first 2 shown]
	v_cmp_gt_u64_e32 vcc, 56, v[26:27]
	v_cmp_gt_u64_e64 s[4:5], 8, v[26:27]
	v_cndmask_b32_e32 v31, 0, v27, vcc
	v_cndmask_b32_e32 v30, 56, v26, vcc
                                        ; implicit-def: $sgpr12
	s_and_saveexec_b64 s[14:15], s[4:5]
	s_xor_b64 s[4:5], exec, s[14:15]
	s_cbranch_execz .LBB0_173
; %bb.168:                              ;   in Loop: Header=BB0_167 Depth=1
	v_cmp_ne_u64_e32 vcc, 0, v[26:27]
	s_waitcnt vmcnt(0)
	v_mov_b32_e32 v4, 0
	v_mov_b32_e32 v5, 0
	s_mov_b64 s[14:15], 0
	s_and_saveexec_b64 s[12:13], vcc
	s_cbranch_execz .LBB0_172
; %bb.169:                              ;   in Loop: Header=BB0_167 Depth=1
	v_lshlrev_b64 v[6:7], 3, v[30:31]
	v_mov_b32_e32 v4, 0
	v_mov_b32_e32 v11, v1
	;; [unrolled: 1-line block ×4, first 2 shown]
	s_mov_b64 s[16:17], 0
.LBB0_170:                              ;   Parent Loop BB0_167 Depth=1
                                        ; =>  This Inner Loop Header: Depth=2
	flat_load_ubyte v7, v[10:11]
	v_mov_b32_e32 v13, s20
	v_add_co_u32_e32 v10, vcc, 1, v10
	v_addc_co_u32_e32 v11, vcc, 0, v11, vcc
	s_waitcnt vmcnt(0) lgkmcnt(0)
	v_and_b32_e32 v12, 0xffff, v7
	v_lshlrev_b64 v[12:13], s16, v[12:13]
	s_add_u32 s16, s16, 8
	s_addc_u32 s17, s17, 0
	v_cmp_eq_u32_e32 vcc, s16, v6
	v_or_b32_e32 v5, v13, v5
	s_or_b64 s[14:15], vcc, s[14:15]
	v_or_b32_e32 v4, v12, v4
	s_andn2_b64 exec, exec, s[14:15]
	s_cbranch_execnz .LBB0_170
; %bb.171:                              ;   in Loop: Header=BB0_167 Depth=1
	s_or_b64 exec, exec, s[14:15]
.LBB0_172:                              ;   in Loop: Header=BB0_167 Depth=1
	s_or_b64 exec, exec, s[12:13]
	s_mov_b32 s12, 0
.LBB0_173:                              ;   in Loop: Header=BB0_167 Depth=1
	s_or_saveexec_b64 s[4:5], s[4:5]
	v_mov_b32_e32 v7, v1
	v_mov_b32_e32 v12, s12
	;; [unrolled: 1-line block ×3, first 2 shown]
	s_xor_b64 exec, exec, s[4:5]
	s_cbranch_execz .LBB0_175
; %bb.174:                              ;   in Loop: Header=BB0_167 Depth=1
	s_waitcnt vmcnt(0)
	flat_load_dwordx2 v[4:5], v[0:1]
	v_add_u32_e32 v12, -8, v30
	s_waitcnt vmcnt(0) lgkmcnt(0)
	v_and_b32_e32 v6, 0xff, v5
	v_and_b32_e32 v7, 0xff00, v5
	;; [unrolled: 1-line block ×4, first 2 shown]
	v_or_b32_e32 v6, v6, v7
	v_or3_b32 v5, v6, v10, v5
	v_add_co_u32_e32 v6, vcc, 8, v0
	v_or3_b32 v4, v4, 0, 0
	v_addc_co_u32_e32 v7, vcc, 0, v1, vcc
.LBB0_175:                              ;   in Loop: Header=BB0_167 Depth=1
	s_or_b64 exec, exec, s[4:5]
	v_cmp_gt_u32_e32 vcc, 8, v12
                                        ; implicit-def: $vgpr10_vgpr11
                                        ; implicit-def: $sgpr12
	s_and_saveexec_b64 s[4:5], vcc
	s_xor_b64 s[4:5], exec, s[4:5]
	s_cbranch_execz .LBB0_181
; %bb.176:                              ;   in Loop: Header=BB0_167 Depth=1
	v_mov_b32_e32 v10, 0
	v_mov_b32_e32 v11, 0
	v_cmp_ne_u32_e32 vcc, 0, v12
	s_and_saveexec_b64 s[12:13], vcc
	s_cbranch_execz .LBB0_180
; %bb.177:                              ;   in Loop: Header=BB0_167 Depth=1
	v_mov_b32_e32 v10, 0
	s_mov_b64 s[14:15], 0
	v_mov_b32_e32 v11, 0
	s_mov_b64 s[16:17], 0
	s_mov_b64 s[18:19], 0
.LBB0_178:                              ;   Parent Loop BB0_167 Depth=1
                                        ; =>  This Inner Loop Header: Depth=2
	v_mov_b32_e32 v14, s19
	v_add_co_u32_e32 v13, vcc, s18, v6
	v_addc_co_u32_e32 v14, vcc, v7, v14, vcc
	flat_load_ubyte v13, v[13:14]
	s_add_u32 s18, s18, 1
	v_mov_b32_e32 v14, s20
	s_addc_u32 s19, s19, 0
	v_cmp_eq_u32_e32 vcc, s18, v12
	s_waitcnt vmcnt(0) lgkmcnt(0)
	v_and_b32_e32 v13, 0xffff, v13
	v_lshlrev_b64 v[13:14], s16, v[13:14]
	s_add_u32 s16, s16, 8
	s_addc_u32 s17, s17, 0
	v_or_b32_e32 v11, v14, v11
	s_or_b64 s[14:15], vcc, s[14:15]
	v_or_b32_e32 v10, v13, v10
	s_andn2_b64 exec, exec, s[14:15]
	s_cbranch_execnz .LBB0_178
; %bb.179:                              ;   in Loop: Header=BB0_167 Depth=1
	s_or_b64 exec, exec, s[14:15]
.LBB0_180:                              ;   in Loop: Header=BB0_167 Depth=1
	s_or_b64 exec, exec, s[12:13]
	s_mov_b32 s12, 0
                                        ; implicit-def: $vgpr12
.LBB0_181:                              ;   in Loop: Header=BB0_167 Depth=1
	s_or_saveexec_b64 s[4:5], s[4:5]
	v_mov_b32_e32 v14, s12
	s_xor_b64 exec, exec, s[4:5]
	s_cbranch_execz .LBB0_183
; %bb.182:                              ;   in Loop: Header=BB0_167 Depth=1
	flat_load_dwordx2 v[10:11], v[6:7]
	v_add_u32_e32 v14, -8, v12
	v_add_co_u32_e32 v6, vcc, 8, v6
	v_addc_co_u32_e32 v7, vcc, 0, v7, vcc
	s_waitcnt vmcnt(0) lgkmcnt(0)
	v_and_b32_e32 v12, 0xff, v11
	v_and_b32_e32 v13, 0xff00, v11
	;; [unrolled: 1-line block ×4, first 2 shown]
	v_or_b32_e32 v12, v12, v13
	v_or3_b32 v10, v10, 0, 0
	v_or3_b32 v11, v12, v15, v11
.LBB0_183:                              ;   in Loop: Header=BB0_167 Depth=1
	s_or_b64 exec, exec, s[4:5]
	v_cmp_gt_u32_e32 vcc, 8, v14
                                        ; implicit-def: $sgpr12
	s_and_saveexec_b64 s[4:5], vcc
	s_xor_b64 s[4:5], exec, s[4:5]
	s_cbranch_execz .LBB0_189
; %bb.184:                              ;   in Loop: Header=BB0_167 Depth=1
	v_mov_b32_e32 v12, 0
	v_mov_b32_e32 v13, 0
	v_cmp_ne_u32_e32 vcc, 0, v14
	s_and_saveexec_b64 s[12:13], vcc
	s_cbranch_execz .LBB0_188
; %bb.185:                              ;   in Loop: Header=BB0_167 Depth=1
	v_mov_b32_e32 v12, 0
	s_mov_b64 s[14:15], 0
	v_mov_b32_e32 v13, 0
	s_mov_b64 s[16:17], 0
	s_mov_b64 s[18:19], 0
.LBB0_186:                              ;   Parent Loop BB0_167 Depth=1
                                        ; =>  This Inner Loop Header: Depth=2
	v_mov_b32_e32 v16, s19
	v_add_co_u32_e32 v15, vcc, s18, v6
	v_addc_co_u32_e32 v16, vcc, v7, v16, vcc
	flat_load_ubyte v15, v[15:16]
	s_add_u32 s18, s18, 1
	v_mov_b32_e32 v16, s20
	s_addc_u32 s19, s19, 0
	v_cmp_eq_u32_e32 vcc, s18, v14
	s_waitcnt vmcnt(0) lgkmcnt(0)
	v_and_b32_e32 v15, 0xffff, v15
	v_lshlrev_b64 v[15:16], s16, v[15:16]
	s_add_u32 s16, s16, 8
	s_addc_u32 s17, s17, 0
	v_or_b32_e32 v13, v16, v13
	s_or_b64 s[14:15], vcc, s[14:15]
	v_or_b32_e32 v12, v15, v12
	s_andn2_b64 exec, exec, s[14:15]
	s_cbranch_execnz .LBB0_186
; %bb.187:                              ;   in Loop: Header=BB0_167 Depth=1
	s_or_b64 exec, exec, s[14:15]
.LBB0_188:                              ;   in Loop: Header=BB0_167 Depth=1
	s_or_b64 exec, exec, s[12:13]
	s_mov_b32 s12, 0
                                        ; implicit-def: $vgpr14
.LBB0_189:                              ;   in Loop: Header=BB0_167 Depth=1
	s_or_saveexec_b64 s[4:5], s[4:5]
	v_mov_b32_e32 v16, s12
	s_xor_b64 exec, exec, s[4:5]
	s_cbranch_execz .LBB0_191
; %bb.190:                              ;   in Loop: Header=BB0_167 Depth=1
	flat_load_dwordx2 v[12:13], v[6:7]
	v_add_u32_e32 v16, -8, v14
	v_add_co_u32_e32 v6, vcc, 8, v6
	v_addc_co_u32_e32 v7, vcc, 0, v7, vcc
	s_waitcnt vmcnt(0) lgkmcnt(0)
	v_and_b32_e32 v14, 0xff, v13
	v_and_b32_e32 v15, 0xff00, v13
	;; [unrolled: 1-line block ×4, first 2 shown]
	v_or_b32_e32 v14, v14, v15
	v_or3_b32 v12, v12, 0, 0
	v_or3_b32 v13, v14, v17, v13
.LBB0_191:                              ;   in Loop: Header=BB0_167 Depth=1
	s_or_b64 exec, exec, s[4:5]
	v_cmp_gt_u32_e32 vcc, 8, v16
                                        ; implicit-def: $vgpr14_vgpr15
                                        ; implicit-def: $sgpr12
	s_and_saveexec_b64 s[4:5], vcc
	s_xor_b64 s[4:5], exec, s[4:5]
	s_cbranch_execz .LBB0_197
; %bb.192:                              ;   in Loop: Header=BB0_167 Depth=1
	v_mov_b32_e32 v14, 0
	v_mov_b32_e32 v15, 0
	v_cmp_ne_u32_e32 vcc, 0, v16
	s_and_saveexec_b64 s[12:13], vcc
	s_cbranch_execz .LBB0_196
; %bb.193:                              ;   in Loop: Header=BB0_167 Depth=1
	v_mov_b32_e32 v14, 0
	s_mov_b64 s[14:15], 0
	v_mov_b32_e32 v15, 0
	s_mov_b64 s[16:17], 0
	s_mov_b64 s[18:19], 0
.LBB0_194:                              ;   Parent Loop BB0_167 Depth=1
                                        ; =>  This Inner Loop Header: Depth=2
	v_mov_b32_e32 v18, s19
	v_add_co_u32_e32 v17, vcc, s18, v6
	v_addc_co_u32_e32 v18, vcc, v7, v18, vcc
	flat_load_ubyte v17, v[17:18]
	s_add_u32 s18, s18, 1
	v_mov_b32_e32 v18, s20
	s_addc_u32 s19, s19, 0
	v_cmp_eq_u32_e32 vcc, s18, v16
	s_waitcnt vmcnt(0) lgkmcnt(0)
	v_and_b32_e32 v17, 0xffff, v17
	v_lshlrev_b64 v[17:18], s16, v[17:18]
	s_add_u32 s16, s16, 8
	s_addc_u32 s17, s17, 0
	v_or_b32_e32 v15, v18, v15
	s_or_b64 s[14:15], vcc, s[14:15]
	v_or_b32_e32 v14, v17, v14
	s_andn2_b64 exec, exec, s[14:15]
	s_cbranch_execnz .LBB0_194
; %bb.195:                              ;   in Loop: Header=BB0_167 Depth=1
	s_or_b64 exec, exec, s[14:15]
.LBB0_196:                              ;   in Loop: Header=BB0_167 Depth=1
	s_or_b64 exec, exec, s[12:13]
	s_mov_b32 s12, 0
                                        ; implicit-def: $vgpr16
.LBB0_197:                              ;   in Loop: Header=BB0_167 Depth=1
	s_or_saveexec_b64 s[4:5], s[4:5]
	v_mov_b32_e32 v18, s12
	s_xor_b64 exec, exec, s[4:5]
	s_cbranch_execz .LBB0_199
; %bb.198:                              ;   in Loop: Header=BB0_167 Depth=1
	flat_load_dwordx2 v[14:15], v[6:7]
	v_add_u32_e32 v18, -8, v16
	v_add_co_u32_e32 v6, vcc, 8, v6
	v_addc_co_u32_e32 v7, vcc, 0, v7, vcc
	s_waitcnt vmcnt(0) lgkmcnt(0)
	v_and_b32_e32 v16, 0xff, v15
	v_and_b32_e32 v17, 0xff00, v15
	;; [unrolled: 1-line block ×4, first 2 shown]
	v_or_b32_e32 v16, v16, v17
	v_or3_b32 v14, v14, 0, 0
	v_or3_b32 v15, v16, v19, v15
.LBB0_199:                              ;   in Loop: Header=BB0_167 Depth=1
	s_or_b64 exec, exec, s[4:5]
	v_cmp_gt_u32_e32 vcc, 8, v18
                                        ; implicit-def: $sgpr12
	s_and_saveexec_b64 s[4:5], vcc
	s_xor_b64 s[4:5], exec, s[4:5]
	s_cbranch_execz .LBB0_205
; %bb.200:                              ;   in Loop: Header=BB0_167 Depth=1
	v_mov_b32_e32 v16, 0
	v_mov_b32_e32 v17, 0
	v_cmp_ne_u32_e32 vcc, 0, v18
	s_and_saveexec_b64 s[12:13], vcc
	s_cbranch_execz .LBB0_204
; %bb.201:                              ;   in Loop: Header=BB0_167 Depth=1
	v_mov_b32_e32 v16, 0
	s_mov_b64 s[14:15], 0
	v_mov_b32_e32 v17, 0
	s_mov_b64 s[16:17], 0
	s_mov_b64 s[18:19], 0
.LBB0_202:                              ;   Parent Loop BB0_167 Depth=1
                                        ; =>  This Inner Loop Header: Depth=2
	v_mov_b32_e32 v20, s19
	v_add_co_u32_e32 v19, vcc, s18, v6
	v_addc_co_u32_e32 v20, vcc, v7, v20, vcc
	flat_load_ubyte v19, v[19:20]
	s_add_u32 s18, s18, 1
	v_mov_b32_e32 v20, s20
	s_addc_u32 s19, s19, 0
	v_cmp_eq_u32_e32 vcc, s18, v18
	s_waitcnt vmcnt(0) lgkmcnt(0)
	v_and_b32_e32 v19, 0xffff, v19
	v_lshlrev_b64 v[19:20], s16, v[19:20]
	s_add_u32 s16, s16, 8
	s_addc_u32 s17, s17, 0
	v_or_b32_e32 v17, v20, v17
	s_or_b64 s[14:15], vcc, s[14:15]
	v_or_b32_e32 v16, v19, v16
	s_andn2_b64 exec, exec, s[14:15]
	s_cbranch_execnz .LBB0_202
; %bb.203:                              ;   in Loop: Header=BB0_167 Depth=1
	s_or_b64 exec, exec, s[14:15]
.LBB0_204:                              ;   in Loop: Header=BB0_167 Depth=1
	s_or_b64 exec, exec, s[12:13]
	s_mov_b32 s12, 0
                                        ; implicit-def: $vgpr18
.LBB0_205:                              ;   in Loop: Header=BB0_167 Depth=1
	s_or_saveexec_b64 s[4:5], s[4:5]
	v_mov_b32_e32 v20, s12
	s_xor_b64 exec, exec, s[4:5]
	s_cbranch_execz .LBB0_207
; %bb.206:                              ;   in Loop: Header=BB0_167 Depth=1
	flat_load_dwordx2 v[16:17], v[6:7]
	v_add_u32_e32 v20, -8, v18
	v_add_co_u32_e32 v6, vcc, 8, v6
	v_addc_co_u32_e32 v7, vcc, 0, v7, vcc
	s_waitcnt vmcnt(0) lgkmcnt(0)
	v_and_b32_e32 v18, 0xff, v17
	v_and_b32_e32 v19, 0xff00, v17
	;; [unrolled: 1-line block ×4, first 2 shown]
	v_or_b32_e32 v18, v18, v19
	v_or3_b32 v16, v16, 0, 0
	v_or3_b32 v17, v18, v21, v17
.LBB0_207:                              ;   in Loop: Header=BB0_167 Depth=1
	s_or_b64 exec, exec, s[4:5]
	v_cmp_gt_u32_e32 vcc, 8, v20
                                        ; implicit-def: $vgpr18_vgpr19
                                        ; implicit-def: $sgpr12
	s_and_saveexec_b64 s[4:5], vcc
	s_xor_b64 s[4:5], exec, s[4:5]
	s_cbranch_execz .LBB0_213
; %bb.208:                              ;   in Loop: Header=BB0_167 Depth=1
	v_mov_b32_e32 v18, 0
	v_mov_b32_e32 v19, 0
	v_cmp_ne_u32_e32 vcc, 0, v20
	s_and_saveexec_b64 s[12:13], vcc
	s_cbranch_execz .LBB0_212
; %bb.209:                              ;   in Loop: Header=BB0_167 Depth=1
	v_mov_b32_e32 v18, 0
	s_mov_b64 s[14:15], 0
	v_mov_b32_e32 v19, 0
	s_mov_b64 s[16:17], 0
	s_mov_b64 s[18:19], 0
.LBB0_210:                              ;   Parent Loop BB0_167 Depth=1
                                        ; =>  This Inner Loop Header: Depth=2
	v_mov_b32_e32 v22, s19
	v_add_co_u32_e32 v21, vcc, s18, v6
	v_addc_co_u32_e32 v22, vcc, v7, v22, vcc
	flat_load_ubyte v21, v[21:22]
	s_add_u32 s18, s18, 1
	v_mov_b32_e32 v22, s20
	s_addc_u32 s19, s19, 0
	v_cmp_eq_u32_e32 vcc, s18, v20
	s_waitcnt vmcnt(0) lgkmcnt(0)
	v_and_b32_e32 v21, 0xffff, v21
	v_lshlrev_b64 v[21:22], s16, v[21:22]
	s_add_u32 s16, s16, 8
	s_addc_u32 s17, s17, 0
	v_or_b32_e32 v19, v22, v19
	s_or_b64 s[14:15], vcc, s[14:15]
	v_or_b32_e32 v18, v21, v18
	s_andn2_b64 exec, exec, s[14:15]
	s_cbranch_execnz .LBB0_210
; %bb.211:                              ;   in Loop: Header=BB0_167 Depth=1
	s_or_b64 exec, exec, s[14:15]
.LBB0_212:                              ;   in Loop: Header=BB0_167 Depth=1
	s_or_b64 exec, exec, s[12:13]
	s_mov_b32 s12, 0
                                        ; implicit-def: $vgpr20
.LBB0_213:                              ;   in Loop: Header=BB0_167 Depth=1
	s_or_saveexec_b64 s[4:5], s[4:5]
	v_mov_b32_e32 v22, s12
	s_xor_b64 exec, exec, s[4:5]
	s_cbranch_execz .LBB0_215
; %bb.214:                              ;   in Loop: Header=BB0_167 Depth=1
	flat_load_dwordx2 v[18:19], v[6:7]
	v_add_u32_e32 v22, -8, v20
	v_add_co_u32_e32 v6, vcc, 8, v6
	v_addc_co_u32_e32 v7, vcc, 0, v7, vcc
	s_waitcnt vmcnt(0) lgkmcnt(0)
	v_and_b32_e32 v20, 0xff, v19
	v_and_b32_e32 v21, 0xff00, v19
	v_and_b32_e32 v23, 0xff0000, v19
	v_and_b32_e32 v19, 0xff000000, v19
	v_or_b32_e32 v20, v20, v21
	v_or3_b32 v18, v18, 0, 0
	v_or3_b32 v19, v20, v23, v19
.LBB0_215:                              ;   in Loop: Header=BB0_167 Depth=1
	s_or_b64 exec, exec, s[4:5]
	v_cmp_gt_u32_e32 vcc, 8, v22
	s_and_saveexec_b64 s[4:5], vcc
	s_xor_b64 s[4:5], exec, s[4:5]
	s_cbranch_execz .LBB0_221
; %bb.216:                              ;   in Loop: Header=BB0_167 Depth=1
	v_mov_b32_e32 v20, 0
	v_mov_b32_e32 v21, 0
	v_cmp_ne_u32_e32 vcc, 0, v22
	s_and_saveexec_b64 s[12:13], vcc
	s_cbranch_execz .LBB0_220
; %bb.217:                              ;   in Loop: Header=BB0_167 Depth=1
	v_mov_b32_e32 v20, 0
	s_mov_b64 s[14:15], 0
	v_mov_b32_e32 v21, 0
	s_mov_b64 s[16:17], 0
.LBB0_218:                              ;   Parent Loop BB0_167 Depth=1
                                        ; =>  This Inner Loop Header: Depth=2
	flat_load_ubyte v23, v[6:7]
	v_mov_b32_e32 v24, s20
	v_add_co_u32_e32 v6, vcc, 1, v6
	v_add_u32_e32 v22, -1, v22
	v_addc_co_u32_e32 v7, vcc, 0, v7, vcc
	v_cmp_eq_u32_e32 vcc, 0, v22
	s_waitcnt vmcnt(0) lgkmcnt(0)
	v_and_b32_e32 v23, 0xffff, v23
	v_lshlrev_b64 v[23:24], s16, v[23:24]
	s_add_u32 s16, s16, 8
	s_addc_u32 s17, s17, 0
	v_or_b32_e32 v21, v24, v21
	s_or_b64 s[14:15], vcc, s[14:15]
	v_or_b32_e32 v20, v23, v20
	s_andn2_b64 exec, exec, s[14:15]
	s_cbranch_execnz .LBB0_218
; %bb.219:                              ;   in Loop: Header=BB0_167 Depth=1
	s_or_b64 exec, exec, s[14:15]
.LBB0_220:                              ;   in Loop: Header=BB0_167 Depth=1
	s_or_b64 exec, exec, s[12:13]
                                        ; implicit-def: $vgpr6_vgpr7
.LBB0_221:                              ;   in Loop: Header=BB0_167 Depth=1
	s_andn2_saveexec_b64 s[4:5], s[4:5]
	s_cbranch_execz .LBB0_223
; %bb.222:                              ;   in Loop: Header=BB0_167 Depth=1
	flat_load_dwordx2 v[6:7], v[6:7]
	s_waitcnt vmcnt(0) lgkmcnt(0)
	v_and_b32_e32 v20, 0xff, v7
	v_and_b32_e32 v21, 0xff00, v7
	;; [unrolled: 1-line block ×4, first 2 shown]
	v_or_b32_e32 v20, v20, v21
	v_or3_b32 v21, v20, v22, v7
	v_or3_b32 v20, v6, 0, 0
.LBB0_223:                              ;   in Loop: Header=BB0_167 Depth=1
	s_or_b64 exec, exec, s[4:5]
	v_readfirstlane_b32 s4, v35
	v_mov_b32_e32 v6, 0
	v_mov_b32_e32 v7, 0
	v_cmp_eq_u32_e64 s[4:5], s4, v35
	s_and_saveexec_b64 s[12:13], s[4:5]
	s_cbranch_execz .LBB0_229
; %bb.224:                              ;   in Loop: Header=BB0_167 Depth=1
	global_load_dwordx2 v[24:25], v29, s[6:7] offset:24 glc
	s_waitcnt vmcnt(0)
	buffer_wbinvl1_vol
	global_load_dwordx2 v[6:7], v29, s[6:7] offset:40
	global_load_dwordx2 v[22:23], v29, s[6:7]
	s_waitcnt vmcnt(1)
	v_and_b32_e32 v6, v6, v24
	v_and_b32_e32 v7, v7, v25
	v_mul_lo_u32 v7, v7, 24
	v_mul_hi_u32 v28, v6, 24
	v_mul_lo_u32 v6, v6, 24
	v_add_u32_e32 v7, v28, v7
	s_waitcnt vmcnt(0)
	v_add_co_u32_e32 v6, vcc, v22, v6
	v_addc_co_u32_e32 v7, vcc, v23, v7, vcc
	global_load_dwordx2 v[22:23], v[6:7], off glc
	s_waitcnt vmcnt(0)
	global_atomic_cmpswap_x2 v[6:7], v29, v[22:25], s[6:7] offset:24 glc
	s_waitcnt vmcnt(0)
	buffer_wbinvl1_vol
	v_cmp_ne_u64_e32 vcc, v[6:7], v[24:25]
	s_and_saveexec_b64 s[14:15], vcc
	s_cbranch_execz .LBB0_228
; %bb.225:                              ;   in Loop: Header=BB0_167 Depth=1
	s_mov_b64 s[16:17], 0
.LBB0_226:                              ;   Parent Loop BB0_167 Depth=1
                                        ; =>  This Inner Loop Header: Depth=2
	s_sleep 1
	global_load_dwordx2 v[22:23], v29, s[6:7] offset:40
	global_load_dwordx2 v[32:33], v29, s[6:7]
	v_mov_b32_e32 v25, v7
	v_mov_b32_e32 v24, v6
	s_waitcnt vmcnt(1)
	v_and_b32_e32 v6, v22, v24
	s_waitcnt vmcnt(0)
	v_mad_u64_u32 v[6:7], s[18:19], v6, 24, v[32:33]
	v_and_b32_e32 v22, v23, v25
	v_mad_u64_u32 v[22:23], s[18:19], v22, 24, v[7:8]
	v_mov_b32_e32 v7, v22
	global_load_dwordx2 v[22:23], v[6:7], off glc
	s_waitcnt vmcnt(0)
	global_atomic_cmpswap_x2 v[6:7], v29, v[22:25], s[6:7] offset:24 glc
	s_waitcnt vmcnt(0)
	buffer_wbinvl1_vol
	v_cmp_eq_u64_e32 vcc, v[6:7], v[24:25]
	s_or_b64 s[16:17], vcc, s[16:17]
	s_andn2_b64 exec, exec, s[16:17]
	s_cbranch_execnz .LBB0_226
; %bb.227:                              ;   in Loop: Header=BB0_167 Depth=1
	s_or_b64 exec, exec, s[16:17]
.LBB0_228:                              ;   in Loop: Header=BB0_167 Depth=1
	s_or_b64 exec, exec, s[14:15]
.LBB0_229:                              ;   in Loop: Header=BB0_167 Depth=1
	s_or_b64 exec, exec, s[12:13]
	global_load_dwordx2 v[32:33], v29, s[6:7] offset:40
	global_load_dwordx4 v[22:25], v29, s[6:7]
	v_readfirstlane_b32 s12, v6
	v_readfirstlane_b32 s13, v7
	s_mov_b64 s[14:15], exec
	s_waitcnt vmcnt(1)
	v_readfirstlane_b32 s16, v32
	v_readfirstlane_b32 s17, v33
	s_and_b64 s[16:17], s[12:13], s[16:17]
	s_mul_i32 s18, s17, 24
	s_mul_hi_u32 s19, s16, 24
	s_mul_i32 s22, s16, 24
	s_add_i32 s18, s19, s18
	v_mov_b32_e32 v6, s18
	s_waitcnt vmcnt(0)
	v_add_co_u32_e32 v32, vcc, s22, v22
	v_addc_co_u32_e32 v33, vcc, v23, v6, vcc
	s_and_saveexec_b64 s[18:19], s[4:5]
	s_cbranch_execz .LBB0_231
; %bb.230:                              ;   in Loop: Header=BB0_167 Depth=1
	v_mov_b32_e32 v6, s14
	v_mov_b32_e32 v7, s15
	global_store_dwordx4 v[32:33], v[6:9], off offset:8
.LBB0_231:                              ;   in Loop: Header=BB0_167 Depth=1
	s_or_b64 exec, exec, s[18:19]
	s_lshl_b64 s[14:15], s[16:17], 12
	v_mov_b32_e32 v6, s15
	v_add_co_u32_e32 v24, vcc, s14, v24
	v_addc_co_u32_e32 v25, vcc, v25, v6, vcc
	v_cmp_lt_u64_e32 vcc, 56, v[26:27]
	v_or_b32_e32 v6, 2, v2
	v_cndmask_b32_e32 v2, v6, v2, vcc
	v_lshl_add_u32 v6, v30, 2, 28
	v_and_b32_e32 v6, 0x1e0, v6
	v_and_or_b32 v2, v2, s21, v6
	v_readfirstlane_b32 s14, v24
	v_readfirstlane_b32 s15, v25
	s_nop 4
	global_store_dwordx4 v34, v[2:5], s[14:15]
	global_store_dwordx4 v34, v[10:13], s[14:15] offset:16
	global_store_dwordx4 v34, v[14:17], s[14:15] offset:32
	;; [unrolled: 1-line block ×3, first 2 shown]
	s_and_saveexec_b64 s[14:15], s[4:5]
	s_cbranch_execz .LBB0_239
; %bb.232:                              ;   in Loop: Header=BB0_167 Depth=1
	global_load_dwordx2 v[12:13], v29, s[6:7] offset:32 glc
	global_load_dwordx2 v[2:3], v29, s[6:7] offset:40
	v_mov_b32_e32 v10, s12
	v_mov_b32_e32 v11, s13
	s_waitcnt vmcnt(0)
	v_readfirstlane_b32 s16, v2
	v_readfirstlane_b32 s17, v3
	s_and_b64 s[16:17], s[16:17], s[12:13]
	s_mul_i32 s17, s17, 24
	s_mul_hi_u32 s18, s16, 24
	s_mul_i32 s16, s16, 24
	s_add_i32 s17, s18, s17
	v_mov_b32_e32 v2, s17
	v_add_co_u32_e32 v6, vcc, s16, v22
	v_addc_co_u32_e32 v7, vcc, v23, v2, vcc
	global_store_dwordx2 v[6:7], v[12:13], off
	s_waitcnt vmcnt(0)
	global_atomic_cmpswap_x2 v[4:5], v29, v[10:13], s[6:7] offset:32 glc
	s_waitcnt vmcnt(0)
	v_cmp_ne_u64_e32 vcc, v[4:5], v[12:13]
	s_and_saveexec_b64 s[16:17], vcc
	s_cbranch_execz .LBB0_235
; %bb.233:                              ;   in Loop: Header=BB0_167 Depth=1
	s_mov_b64 s[18:19], 0
.LBB0_234:                              ;   Parent Loop BB0_167 Depth=1
                                        ; =>  This Inner Loop Header: Depth=2
	s_sleep 1
	global_store_dwordx2 v[6:7], v[4:5], off
	v_mov_b32_e32 v2, s12
	v_mov_b32_e32 v3, s13
	s_waitcnt vmcnt(0)
	global_atomic_cmpswap_x2 v[2:3], v29, v[2:5], s[6:7] offset:32 glc
	s_waitcnt vmcnt(0)
	v_cmp_eq_u64_e32 vcc, v[2:3], v[4:5]
	v_mov_b32_e32 v5, v3
	s_or_b64 s[18:19], vcc, s[18:19]
	v_mov_b32_e32 v4, v2
	s_andn2_b64 exec, exec, s[18:19]
	s_cbranch_execnz .LBB0_234
.LBB0_235:                              ;   in Loop: Header=BB0_167 Depth=1
	s_or_b64 exec, exec, s[16:17]
	global_load_dwordx2 v[2:3], v29, s[6:7] offset:16
	s_mov_b64 s[18:19], exec
	v_mbcnt_lo_u32_b32 v4, s18, 0
	v_mbcnt_hi_u32_b32 v4, s19, v4
	v_cmp_eq_u32_e32 vcc, 0, v4
	s_and_saveexec_b64 s[16:17], vcc
	s_cbranch_execz .LBB0_237
; %bb.236:                              ;   in Loop: Header=BB0_167 Depth=1
	s_bcnt1_i32_b64 s18, s[18:19]
	v_mov_b32_e32 v28, s18
	s_waitcnt vmcnt(0)
	global_atomic_add_x2 v[2:3], v[28:29], off offset:8
.LBB0_237:                              ;   in Loop: Header=BB0_167 Depth=1
	s_or_b64 exec, exec, s[16:17]
	s_waitcnt vmcnt(0)
	global_load_dwordx2 v[4:5], v[2:3], off offset:16
	s_waitcnt vmcnt(0)
	v_cmp_eq_u64_e32 vcc, 0, v[4:5]
	s_cbranch_vccnz .LBB0_239
; %bb.238:                              ;   in Loop: Header=BB0_167 Depth=1
	global_load_dword v28, v[2:3], off offset:24
	s_waitcnt vmcnt(0)
	v_and_b32_e32 v2, 0xffffff, v28
	v_readfirstlane_b32 m0, v2
	global_store_dwordx2 v[4:5], v[28:29], off
	s_sendmsg sendmsg(MSG_INTERRUPT)
.LBB0_239:                              ;   in Loop: Header=BB0_167 Depth=1
	s_or_b64 exec, exec, s[14:15]
	v_add_co_u32_e32 v2, vcc, v24, v34
	v_addc_co_u32_e32 v3, vcc, 0, v25, vcc
	s_branch .LBB0_243
.LBB0_240:                              ;   in Loop: Header=BB0_243 Depth=2
	s_or_b64 exec, exec, s[14:15]
	v_readfirstlane_b32 s14, v4
	s_cmp_eq_u32 s14, 0
	s_cbranch_scc1 .LBB0_242
; %bb.241:                              ;   in Loop: Header=BB0_243 Depth=2
	s_sleep 1
	s_cbranch_execnz .LBB0_243
	s_branch .LBB0_245
.LBB0_242:                              ;   in Loop: Header=BB0_167 Depth=1
	s_branch .LBB0_245
.LBB0_243:                              ;   Parent Loop BB0_167 Depth=1
                                        ; =>  This Inner Loop Header: Depth=2
	v_mov_b32_e32 v4, 1
	s_and_saveexec_b64 s[14:15], s[4:5]
	s_cbranch_execz .LBB0_240
; %bb.244:                              ;   in Loop: Header=BB0_243 Depth=2
	global_load_dword v4, v[32:33], off offset:20 glc
	s_waitcnt vmcnt(0)
	buffer_wbinvl1_vol
	v_and_b32_e32 v4, 1, v4
	s_branch .LBB0_240
.LBB0_245:                              ;   in Loop: Header=BB0_167 Depth=1
	global_load_dwordx4 v[2:5], v[2:3], off
	s_and_saveexec_b64 s[14:15], s[4:5]
	s_cbranch_execz .LBB0_166
; %bb.246:                              ;   in Loop: Header=BB0_167 Depth=1
	global_load_dwordx2 v[6:7], v29, s[6:7] offset:40
	global_load_dwordx2 v[12:13], v29, s[6:7] offset:24 glc
	global_load_dwordx2 v[10:11], v29, s[6:7]
	s_waitcnt vmcnt(3)
	v_mov_b32_e32 v5, s13
	s_waitcnt vmcnt(2)
	v_add_co_u32_e32 v14, vcc, 1, v6
	v_addc_co_u32_e32 v15, vcc, 0, v7, vcc
	v_add_co_u32_e32 v4, vcc, s12, v14
	v_addc_co_u32_e32 v5, vcc, v15, v5, vcc
	v_cmp_eq_u64_e32 vcc, 0, v[4:5]
	v_cndmask_b32_e32 v5, v5, v15, vcc
	v_cndmask_b32_e32 v4, v4, v14, vcc
	v_and_b32_e32 v7, v5, v7
	v_and_b32_e32 v6, v4, v6
	v_mul_lo_u32 v7, v7, 24
	v_mul_hi_u32 v14, v6, 24
	v_mul_lo_u32 v15, v6, 24
	s_waitcnt vmcnt(1)
	v_mov_b32_e32 v6, v12
	v_add_u32_e32 v7, v14, v7
	s_waitcnt vmcnt(0)
	v_add_co_u32_e32 v10, vcc, v10, v15
	v_addc_co_u32_e32 v11, vcc, v11, v7, vcc
	global_store_dwordx2 v[10:11], v[12:13], off
	v_mov_b32_e32 v7, v13
	s_waitcnt vmcnt(0)
	global_atomic_cmpswap_x2 v[6:7], v29, v[4:7], s[6:7] offset:24 glc
	s_waitcnt vmcnt(0)
	v_cmp_ne_u64_e32 vcc, v[6:7], v[12:13]
	s_and_b64 exec, exec, vcc
	s_cbranch_execz .LBB0_166
; %bb.247:                              ;   in Loop: Header=BB0_167 Depth=1
	s_mov_b64 s[4:5], 0
.LBB0_248:                              ;   Parent Loop BB0_167 Depth=1
                                        ; =>  This Inner Loop Header: Depth=2
	s_sleep 1
	global_store_dwordx2 v[10:11], v[6:7], off
	s_waitcnt vmcnt(0)
	global_atomic_cmpswap_x2 v[12:13], v29, v[4:7], s[6:7] offset:24 glc
	s_waitcnt vmcnt(0)
	v_cmp_eq_u64_e32 vcc, v[12:13], v[6:7]
	v_mov_b32_e32 v6, v12
	s_or_b64 s[4:5], vcc, s[4:5]
	v_mov_b32_e32 v7, v13
	s_andn2_b64 exec, exec, s[4:5]
	s_cbranch_execnz .LBB0_248
	s_branch .LBB0_166
.LBB0_249:
	s_and_saveexec_b64 s[12:13], s[4:5]
	s_cbranch_execz .LBB0_252
; %bb.250:
	v_mov_b32_e32 v6, 0
	global_load_dwordx2 v[2:3], v6, s[6:7] offset:40
	global_load_dwordx2 v[7:8], v6, s[6:7] offset:24 glc
	global_load_dwordx2 v[4:5], v6, s[6:7]
	v_mov_b32_e32 v1, s11
	s_mov_b64 s[4:5], 0
	s_waitcnt vmcnt(2)
	v_add_co_u32_e32 v9, vcc, 1, v2
	v_addc_co_u32_e32 v10, vcc, 0, v3, vcc
	v_add_co_u32_e32 v0, vcc, s10, v9
	v_addc_co_u32_e32 v1, vcc, v10, v1, vcc
	v_cmp_eq_u64_e32 vcc, 0, v[0:1]
	v_cndmask_b32_e32 v1, v1, v10, vcc
	v_cndmask_b32_e32 v0, v0, v9, vcc
	v_and_b32_e32 v3, v1, v3
	v_and_b32_e32 v2, v0, v2
	v_mul_lo_u32 v3, v3, 24
	v_mul_hi_u32 v9, v2, 24
	v_mul_lo_u32 v10, v2, 24
	s_waitcnt vmcnt(1)
	v_mov_b32_e32 v2, v7
	v_add_u32_e32 v3, v9, v3
	s_waitcnt vmcnt(0)
	v_add_co_u32_e32 v4, vcc, v4, v10
	v_addc_co_u32_e32 v5, vcc, v5, v3, vcc
	global_store_dwordx2 v[4:5], v[7:8], off
	v_mov_b32_e32 v3, v8
	s_waitcnt vmcnt(0)
	global_atomic_cmpswap_x2 v[2:3], v6, v[0:3], s[6:7] offset:24 glc
	s_waitcnt vmcnt(0)
	v_cmp_ne_u64_e32 vcc, v[2:3], v[7:8]
	s_and_b64 exec, exec, vcc
	s_cbranch_execz .LBB0_252
.LBB0_251:                              ; =>This Inner Loop Header: Depth=1
	s_sleep 1
	global_store_dwordx2 v[4:5], v[2:3], off
	s_waitcnt vmcnt(0)
	global_atomic_cmpswap_x2 v[7:8], v6, v[0:3], s[6:7] offset:24 glc
	s_waitcnt vmcnt(0)
	v_cmp_eq_u64_e32 vcc, v[7:8], v[2:3]
	v_mov_b32_e32 v2, v7
	s_or_b64 s[4:5], vcc, s[4:5]
	v_mov_b32_e32 v3, v8
	s_andn2_b64 exec, exec, s[4:5]
	s_cbranch_execnz .LBB0_251
.LBB0_252:
	s_or_b64 exec, exec, s[12:13]
	s_or_b64 exec, exec, s[8:9]
	s_waitcnt vmcnt(0) lgkmcnt(0)
	s_setpc_b64 s[30:31]
.LBB0_253:
	s_or_b64 exec, exec, s[10:11]
                                        ; implicit-def: $vgpr2_vgpr3
                                        ; implicit-def: $vgpr34
                                        ; implicit-def: $vgpr35
	s_andn2_saveexec_b64 s[8:9], s[8:9]
	s_cbranch_execnz .LBB0_140
.LBB0_254:
	s_or_b64 exec, exec, s[8:9]
	s_waitcnt vmcnt(0) lgkmcnt(0)
	s_setpc_b64 s[30:31]
.Lfunc_end0:
	.size	_ZNK8migraphx13basic_printerIZNS_4coutEvEUlT_E_ElsEPKc, .Lfunc_end0-_ZNK8migraphx13basic_printerIZNS_4coutEvEUlT_E_ElsEPKc
                                        ; -- End function
	.section	.AMDGPU.csdata,"",@progbits
; Function info:
; codeLenInByte = 8900
; NumSgprs: 36
; NumVgprs: 36
; ScratchSize: 0
; MemoryBound: 0
	.text
	.p2align	2                               ; -- Begin function _ZN8migraphx4testlsIKNS_13basic_printerIZNS_4coutEvEUlT_E_EEEERS3_S7_RKNS0_10expressionINS0_14lhs_expressionIRNS_5arrayIiLj6EEENS0_3nopEEESC_NS0_5equalEEE
	.type	_ZN8migraphx4testlsIKNS_13basic_printerIZNS_4coutEvEUlT_E_EEEERS3_S7_RKNS0_10expressionINS0_14lhs_expressionIRNS_5arrayIiLj6EEENS0_3nopEEESC_NS0_5equalEEE,@function
_ZN8migraphx4testlsIKNS_13basic_printerIZNS_4coutEvEUlT_E_EEEERS3_S7_RKNS0_10expressionINS0_14lhs_expressionIRNS_5arrayIiLj6EEENS0_3nopEEESC_NS0_5equalEEE: ; @_ZN8migraphx4testlsIKNS_13basic_printerIZNS_4coutEvEUlT_E_EEEERS3_S7_RKNS0_10expressionINS0_14lhs_expressionIRNS_5arrayIiLj6EEENS0_3nopEEESC_NS0_5equalEEE
; %bb.0:
	s_waitcnt vmcnt(0) expcnt(0) lgkmcnt(0)
	s_mov_b32 s4, s33
	s_mov_b32 s33, s32
	s_or_saveexec_b64 s[6:7], -1
	buffer_store_dword v41, off, s[0:3], s33 ; 4-byte Folded Spill
	s_mov_b64 exec, s[6:7]
	v_writelane_b32 v41, s4, 2
	v_writelane_b32 v41, s30, 0
	s_addk_i32 s32, 0x400
	v_writelane_b32 v41, s31, 1
	v_mov_b32_e32 v37, v1
	v_mov_b32_e32 v36, v0
	flat_load_dwordx2 v[38:39], v[36:37]
	s_getpc_b64 s[4:5]
	s_add_u32 s4, s4, .str.7@rel32@lo+4
	s_addc_u32 s5, s5, .str.7@rel32@hi+12
	s_mov_b32 s35, 0
	s_cmp_lg_u64 s[4:5], 0
	v_mbcnt_lo_u32_b32 v0, -1, 0
	s_mov_b64 s[24:25], s[8:9]
	s_cselect_b64 s[26:27], -1, 0
	v_mbcnt_hi_u32_b32 v55, -1, v0
	v_mov_b32_e32 v50, 0
	s_mov_b32 s36, s35
	s_mov_b32 s37, s35
	s_mov_b32 s38, s35
	s_mov_b32 s39, s35
	s_movk_i32 s23, 0xff1f
	s_movk_i32 s40, 0xff1d
	v_mov_b32_e32 v53, 2
	v_mov_b32_e32 v54, 1
	;; [unrolled: 1-line block ×3, first 2 shown]
	s_mov_b32 s34, s35
	s_branch .LBB1_2
.LBB1_1:                                ;   in Loop: Header=BB1_2 Depth=1
	s_or_b64 exec, exec, s[8:9]
	s_add_i32 s34, s34, 1
	s_cmp_lg_u32 s34, 6
	s_cbranch_scc0 .LBB1_169
.LBB1_2:                                ; =>This Loop Header: Depth=1
                                        ;     Child Loop BB1_7 Depth 2
                                        ;     Child Loop BB1_15 Depth 2
                                        ;     Child Loop BB1_24 Depth 2
                                        ;     Child Loop BB1_29 Depth 2
                                        ;     Child Loop BB1_119 Depth 2
                                        ;     Child Loop BB1_127 Depth 2
                                        ;     Child Loop BB1_136 Depth 2
                                        ;     Child Loop BB1_141 Depth 2
                                        ;     Child Loop BB1_33 Depth 2
                                        ;       Child Loop BB1_36 Depth 3
                                        ;       Child Loop BB1_43 Depth 3
	;; [unrolled: 1-line block ×11, first 2 shown]
                                        ;     Child Loop BB1_146 Depth 2
                                        ;     Child Loop BB1_154 Depth 2
	;; [unrolled: 1-line block ×4, first 2 shown]
	s_cmp_eq_u32 s34, 0
	s_cbranch_scc1 .LBB1_4
; %bb.3:                                ;   in Loop: Header=BB1_2 Depth=1
	s_getpc_b64 s[4:5]
	s_add_u32 s4, s4, .str.11@rel32@lo+4
	s_addc_u32 s5, s5, .str.11@rel32@hi+12
	s_mov_b64 s[8:9], s[24:25]
	v_mov_b32_e32 v0, s4
	v_mov_b32_e32 v1, s5
	s_getpc_b64 s[6:7]
	s_add_u32 s6, s6, _ZNK8migraphx13basic_printerIZNS_4coutEvEUlT_E_ElsEPKc@rel32@lo+4
	s_addc_u32 s7, s7, _ZNK8migraphx13basic_printerIZNS_4coutEvEUlT_E_ElsEPKc@rel32@hi+12
	s_swappc_b64 s[30:31], s[6:7]
.LBB1_4:                                ;   in Loop: Header=BB1_2 Depth=1
	s_lshl_b64 s[4:5], s[34:35], 2
	v_mov_b32_e32 v1, s5
	s_waitcnt vmcnt(0) lgkmcnt(0)
	v_add_co_u32_e32 v0, vcc, s4, v38
	v_addc_co_u32_e32 v1, vcc, v39, v1, vcc
	flat_load_dword v24, v[0:1]
	s_load_dwordx2 s[28:29], s[24:25], 0x50
	v_readfirstlane_b32 s4, v55
	v_mov_b32_e32 v4, 0
	v_mov_b32_e32 v5, 0
	v_cmp_eq_u32_e64 s[4:5], s4, v55
	s_and_saveexec_b64 s[6:7], s[4:5]
	s_cbranch_execz .LBB1_10
; %bb.5:                                ;   in Loop: Header=BB1_2 Depth=1
	s_waitcnt lgkmcnt(0)
	global_load_dwordx2 v[2:3], v50, s[28:29] offset:24 glc
	s_waitcnt vmcnt(0)
	buffer_wbinvl1_vol
	global_load_dwordx2 v[0:1], v50, s[28:29] offset:40
	global_load_dwordx2 v[4:5], v50, s[28:29]
	s_waitcnt vmcnt(1)
	v_and_b32_e32 v0, v0, v2
	v_and_b32_e32 v1, v1, v3
	v_mul_lo_u32 v1, v1, 24
	v_mul_hi_u32 v6, v0, 24
	v_mul_lo_u32 v0, v0, 24
	v_add_u32_e32 v1, v6, v1
	s_waitcnt vmcnt(0)
	v_add_co_u32_e32 v0, vcc, v4, v0
	v_addc_co_u32_e32 v1, vcc, v5, v1, vcc
	global_load_dwordx2 v[0:1], v[0:1], off glc
	s_waitcnt vmcnt(0)
	global_atomic_cmpswap_x2 v[4:5], v50, v[0:3], s[28:29] offset:24 glc
	s_waitcnt vmcnt(0)
	buffer_wbinvl1_vol
	v_cmp_ne_u64_e32 vcc, v[4:5], v[2:3]
	s_and_saveexec_b64 s[8:9], vcc
	s_cbranch_execz .LBB1_9
; %bb.6:                                ;   in Loop: Header=BB1_2 Depth=1
	s_mov_b64 s[10:11], 0
.LBB1_7:                                ;   Parent Loop BB1_2 Depth=1
                                        ; =>  This Inner Loop Header: Depth=2
	s_sleep 1
	global_load_dwordx2 v[0:1], v50, s[28:29] offset:40
	global_load_dwordx2 v[6:7], v50, s[28:29]
	v_mov_b32_e32 v2, v4
	v_mov_b32_e32 v3, v5
	s_waitcnt vmcnt(1)
	v_and_b32_e32 v0, v0, v2
	s_waitcnt vmcnt(0)
	v_mad_u64_u32 v[4:5], s[12:13], v0, 24, v[6:7]
	v_and_b32_e32 v1, v1, v3
	v_mov_b32_e32 v0, v5
	v_mad_u64_u32 v[0:1], s[12:13], v1, 24, v[0:1]
	v_mov_b32_e32 v5, v0
	global_load_dwordx2 v[0:1], v[4:5], off glc
	s_waitcnt vmcnt(0)
	global_atomic_cmpswap_x2 v[4:5], v50, v[0:3], s[28:29] offset:24 glc
	s_waitcnt vmcnt(0)
	buffer_wbinvl1_vol
	v_cmp_eq_u64_e32 vcc, v[4:5], v[2:3]
	s_or_b64 s[10:11], vcc, s[10:11]
	s_andn2_b64 exec, exec, s[10:11]
	s_cbranch_execnz .LBB1_7
; %bb.8:                                ;   in Loop: Header=BB1_2 Depth=1
	s_or_b64 exec, exec, s[10:11]
.LBB1_9:                                ;   in Loop: Header=BB1_2 Depth=1
	s_or_b64 exec, exec, s[8:9]
.LBB1_10:                               ;   in Loop: Header=BB1_2 Depth=1
	s_or_b64 exec, exec, s[6:7]
	s_waitcnt lgkmcnt(0)
	global_load_dwordx2 v[6:7], v50, s[28:29] offset:40
	global_load_dwordx4 v[0:3], v50, s[28:29]
	v_readfirstlane_b32 s6, v4
	v_readfirstlane_b32 s7, v5
	s_mov_b64 s[8:9], exec
	s_waitcnt vmcnt(0)
	v_readfirstlane_b32 s10, v6
	v_readfirstlane_b32 s11, v7
	s_and_b64 s[10:11], s[6:7], s[10:11]
	s_mul_i32 s12, s11, 24
	s_mul_hi_u32 s13, s10, 24
	s_mul_i32 s14, s10, 24
	s_add_i32 s12, s13, s12
	v_mov_b32_e32 v5, s12
	v_add_co_u32_e32 v4, vcc, s14, v0
	v_addc_co_u32_e32 v5, vcc, v1, v5, vcc
	s_and_saveexec_b64 s[12:13], s[4:5]
	s_cbranch_execz .LBB1_12
; %bb.11:                               ;   in Loop: Header=BB1_2 Depth=1
	v_mov_b32_e32 v52, s9
	v_mov_b32_e32 v51, s8
	global_store_dwordx4 v[4:5], v[51:54], off offset:8
.LBB1_12:                               ;   in Loop: Header=BB1_2 Depth=1
	s_or_b64 exec, exec, s[12:13]
	s_lshl_b64 s[8:9], s[10:11], 12
	v_mov_b32_e32 v6, s9
	v_add_co_u32_e32 v8, vcc, s8, v2
	v_addc_co_u32_e32 v9, vcc, v3, v6, vcc
	v_mov_b32_e32 v10, s36
	v_lshlrev_b32_e32 v40, 6, v55
	v_mov_b32_e32 v49, v50
	v_mov_b32_e32 v51, v50
	v_readfirstlane_b32 s8, v8
	v_readfirstlane_b32 s9, v9
	v_mov_b32_e32 v11, s37
	v_mov_b32_e32 v12, s38
	;; [unrolled: 1-line block ×3, first 2 shown]
	s_nop 1
	global_store_dwordx4 v40, v[48:51], s[8:9]
	global_store_dwordx4 v40, v[10:13], s[8:9] offset:16
	global_store_dwordx4 v40, v[10:13], s[8:9] offset:32
	;; [unrolled: 1-line block ×3, first 2 shown]
	s_and_saveexec_b64 s[8:9], s[4:5]
	s_cbranch_execz .LBB1_20
; %bb.13:                               ;   in Loop: Header=BB1_2 Depth=1
	global_load_dwordx2 v[12:13], v50, s[28:29] offset:32 glc
	global_load_dwordx2 v[2:3], v50, s[28:29] offset:40
	v_mov_b32_e32 v10, s6
	v_mov_b32_e32 v11, s7
	s_waitcnt vmcnt(0)
	v_and_b32_e32 v2, s6, v2
	v_and_b32_e32 v3, s7, v3
	v_mul_lo_u32 v3, v3, 24
	v_mul_hi_u32 v6, v2, 24
	v_mul_lo_u32 v2, v2, 24
	v_add_u32_e32 v3, v6, v3
	v_add_co_u32_e32 v6, vcc, v0, v2
	v_addc_co_u32_e32 v7, vcc, v1, v3, vcc
	global_store_dwordx2 v[6:7], v[12:13], off
	s_waitcnt vmcnt(0)
	global_atomic_cmpswap_x2 v[2:3], v50, v[10:13], s[28:29] offset:32 glc
	s_waitcnt vmcnt(0)
	v_cmp_ne_u64_e32 vcc, v[2:3], v[12:13]
	s_and_saveexec_b64 s[10:11], vcc
	s_cbranch_execz .LBB1_16
; %bb.14:                               ;   in Loop: Header=BB1_2 Depth=1
	s_mov_b64 s[12:13], 0
.LBB1_15:                               ;   Parent Loop BB1_2 Depth=1
                                        ; =>  This Inner Loop Header: Depth=2
	s_sleep 1
	global_store_dwordx2 v[6:7], v[2:3], off
	v_mov_b32_e32 v0, s6
	v_mov_b32_e32 v1, s7
	s_waitcnt vmcnt(0)
	global_atomic_cmpswap_x2 v[0:1], v50, v[0:3], s[28:29] offset:32 glc
	s_waitcnt vmcnt(0)
	v_cmp_eq_u64_e32 vcc, v[0:1], v[2:3]
	v_mov_b32_e32 v3, v1
	s_or_b64 s[12:13], vcc, s[12:13]
	v_mov_b32_e32 v2, v0
	s_andn2_b64 exec, exec, s[12:13]
	s_cbranch_execnz .LBB1_15
.LBB1_16:                               ;   in Loop: Header=BB1_2 Depth=1
	s_or_b64 exec, exec, s[10:11]
	global_load_dwordx2 v[0:1], v50, s[28:29] offset:16
	s_mov_b64 s[12:13], exec
	v_mbcnt_lo_u32_b32 v2, s12, 0
	v_mbcnt_hi_u32_b32 v2, s13, v2
	v_cmp_eq_u32_e32 vcc, 0, v2
	s_and_saveexec_b64 s[10:11], vcc
	s_cbranch_execz .LBB1_18
; %bb.17:                               ;   in Loop: Header=BB1_2 Depth=1
	s_bcnt1_i32_b64 s12, s[12:13]
	v_mov_b32_e32 v49, s12
	s_waitcnt vmcnt(0)
	global_atomic_add_x2 v[0:1], v[49:50], off offset:8
.LBB1_18:                               ;   in Loop: Header=BB1_2 Depth=1
	s_or_b64 exec, exec, s[10:11]
	s_waitcnt vmcnt(0)
	global_load_dwordx2 v[2:3], v[0:1], off offset:16
	s_waitcnt vmcnt(0)
	v_cmp_eq_u64_e32 vcc, 0, v[2:3]
	s_cbranch_vccnz .LBB1_20
; %bb.19:                               ;   in Loop: Header=BB1_2 Depth=1
	global_load_dword v49, v[0:1], off offset:24
	s_waitcnt vmcnt(0)
	v_and_b32_e32 v0, 0xffffff, v49
	v_readfirstlane_b32 m0, v0
	global_store_dwordx2 v[2:3], v[49:50], off
	s_sendmsg sendmsg(MSG_INTERRUPT)
.LBB1_20:                               ;   in Loop: Header=BB1_2 Depth=1
	s_or_b64 exec, exec, s[8:9]
	v_add_co_u32_e32 v0, vcc, v8, v40
	v_addc_co_u32_e32 v1, vcc, 0, v9, vcc
	s_branch .LBB1_24
.LBB1_21:                               ;   in Loop: Header=BB1_24 Depth=2
	s_or_b64 exec, exec, s[8:9]
	v_readfirstlane_b32 s8, v2
	s_cmp_eq_u32 s8, 0
	s_cbranch_scc1 .LBB1_23
; %bb.22:                               ;   in Loop: Header=BB1_24 Depth=2
	s_sleep 1
	s_cbranch_execnz .LBB1_24
	s_branch .LBB1_26
.LBB1_23:                               ;   in Loop: Header=BB1_2 Depth=1
	s_branch .LBB1_26
.LBB1_24:                               ;   Parent Loop BB1_2 Depth=1
                                        ; =>  This Inner Loop Header: Depth=2
	v_mov_b32_e32 v2, 1
	s_and_saveexec_b64 s[8:9], s[4:5]
	s_cbranch_execz .LBB1_21
; %bb.25:                               ;   in Loop: Header=BB1_24 Depth=2
	global_load_dword v2, v[4:5], off offset:20 glc
	s_waitcnt vmcnt(0)
	buffer_wbinvl1_vol
	v_and_b32_e32 v2, 1, v2
	s_branch .LBB1_21
.LBB1_26:                               ;   in Loop: Header=BB1_2 Depth=1
	global_load_dwordx2 v[0:1], v[0:1], off
	s_and_saveexec_b64 s[8:9], s[4:5]
	s_cbranch_execz .LBB1_30
; %bb.27:                               ;   in Loop: Header=BB1_2 Depth=1
	global_load_dwordx2 v[4:5], v50, s[28:29] offset:40
	global_load_dwordx2 v[8:9], v50, s[28:29] offset:24 glc
	global_load_dwordx2 v[6:7], v50, s[28:29]
	v_mov_b32_e32 v3, s7
	s_waitcnt vmcnt(2)
	v_add_co_u32_e32 v10, vcc, 1, v4
	v_addc_co_u32_e32 v11, vcc, 0, v5, vcc
	v_add_co_u32_e32 v2, vcc, s6, v10
	v_addc_co_u32_e32 v3, vcc, v11, v3, vcc
	v_cmp_eq_u64_e32 vcc, 0, v[2:3]
	v_cndmask_b32_e32 v3, v3, v11, vcc
	v_cndmask_b32_e32 v2, v2, v10, vcc
	v_and_b32_e32 v5, v3, v5
	v_and_b32_e32 v4, v2, v4
	v_mul_lo_u32 v5, v5, 24
	v_mul_hi_u32 v10, v4, 24
	v_mul_lo_u32 v11, v4, 24
	s_waitcnt vmcnt(1)
	v_mov_b32_e32 v4, v8
	v_add_u32_e32 v5, v10, v5
	s_waitcnt vmcnt(0)
	v_add_co_u32_e32 v6, vcc, v6, v11
	v_addc_co_u32_e32 v7, vcc, v7, v5, vcc
	global_store_dwordx2 v[6:7], v[8:9], off
	v_mov_b32_e32 v5, v9
	s_waitcnt vmcnt(0)
	global_atomic_cmpswap_x2 v[4:5], v50, v[2:5], s[28:29] offset:24 glc
	s_waitcnt vmcnt(0)
	v_cmp_ne_u64_e32 vcc, v[4:5], v[8:9]
	s_and_b64 exec, exec, vcc
	s_cbranch_execz .LBB1_30
; %bb.28:                               ;   in Loop: Header=BB1_2 Depth=1
	s_mov_b64 s[4:5], 0
.LBB1_29:                               ;   Parent Loop BB1_2 Depth=1
                                        ; =>  This Inner Loop Header: Depth=2
	s_sleep 1
	global_store_dwordx2 v[6:7], v[4:5], off
	s_waitcnt vmcnt(0)
	global_atomic_cmpswap_x2 v[8:9], v50, v[2:5], s[28:29] offset:24 glc
	s_waitcnt vmcnt(0)
	v_cmp_eq_u64_e32 vcc, v[8:9], v[4:5]
	v_mov_b32_e32 v4, v8
	s_or_b64 s[4:5], vcc, s[4:5]
	v_mov_b32_e32 v5, v9
	s_andn2_b64 exec, exec, s[4:5]
	s_cbranch_execnz .LBB1_29
.LBB1_30:                               ;   in Loop: Header=BB1_2 Depth=1
	s_or_b64 exec, exec, s[8:9]
	s_and_b64 vcc, exec, s[26:27]
	s_cbranch_vccz .LBB1_115
; %bb.31:                               ;   in Loop: Header=BB1_2 Depth=1
	s_waitcnt vmcnt(0)
	v_and_b32_e32 v25, 2, v0
	v_and_b32_e32 v2, -3, v0
	v_mov_b32_e32 v3, v1
	s_mov_b64 s[8:9], 4
	s_getpc_b64 s[6:7]
	s_add_u32 s6, s6, .str.7@rel32@lo+4
	s_addc_u32 s7, s7, .str.7@rel32@hi+12
	s_branch .LBB1_33
.LBB1_32:                               ;   in Loop: Header=BB1_33 Depth=2
	s_or_b64 exec, exec, s[14:15]
	s_sub_u32 s8, s8, s10
	s_subb_u32 s9, s9, s11
	s_add_u32 s6, s6, s10
	s_addc_u32 s7, s7, s11
	s_cmp_lg_u64 s[8:9], 0
	s_cbranch_scc0 .LBB1_114
.LBB1_33:                               ;   Parent Loop BB1_2 Depth=1
                                        ; =>  This Loop Header: Depth=2
                                        ;       Child Loop BB1_36 Depth 3
                                        ;       Child Loop BB1_43 Depth 3
	;; [unrolled: 1-line block ×11, first 2 shown]
	v_cmp_lt_u64_e64 s[4:5], s[8:9], 56
	v_cmp_gt_u64_e64 s[12:13], s[8:9], 7
	s_and_b64 s[4:5], s[4:5], exec
	s_cselect_b32 s11, s9, 0
	s_cselect_b32 s10, s8, 56
	s_and_b64 vcc, exec, s[12:13]
	s_cbranch_vccnz .LBB1_38
; %bb.34:                               ;   in Loop: Header=BB1_33 Depth=2
	s_waitcnt vmcnt(0)
	v_mov_b32_e32 v4, 0
	s_cmp_eq_u64 s[8:9], 0
	v_mov_b32_e32 v5, 0
	s_mov_b64 s[4:5], 0
	s_cbranch_scc1 .LBB1_37
; %bb.35:                               ;   in Loop: Header=BB1_33 Depth=2
	v_mov_b32_e32 v4, 0
	s_lshl_b64 s[12:13], s[10:11], 3
	s_mov_b64 s[14:15], 0
	v_mov_b32_e32 v5, 0
	s_mov_b64 s[16:17], s[6:7]
.LBB1_36:                               ;   Parent Loop BB1_2 Depth=1
                                        ;     Parent Loop BB1_33 Depth=2
                                        ; =>    This Inner Loop Header: Depth=3
	global_load_ubyte v6, v50, s[16:17]
	s_waitcnt vmcnt(0)
	v_and_b32_e32 v49, 0xffff, v6
	v_lshlrev_b64 v[6:7], s14, v[49:50]
	s_add_u32 s14, s14, 8
	s_addc_u32 s15, s15, 0
	s_add_u32 s16, s16, 1
	s_addc_u32 s17, s17, 0
	v_or_b32_e32 v4, v6, v4
	s_cmp_lg_u32 s12, s14
	v_or_b32_e32 v5, v7, v5
	s_cbranch_scc1 .LBB1_36
.LBB1_37:                               ;   in Loop: Header=BB1_33 Depth=2
	s_mov_b32 s16, 0
	s_andn2_b64 vcc, exec, s[4:5]
	s_mov_b64 s[4:5], s[6:7]
	s_cbranch_vccz .LBB1_39
	s_branch .LBB1_40
.LBB1_38:                               ;   in Loop: Header=BB1_33 Depth=2
                                        ; implicit-def: $vgpr4_vgpr5
                                        ; implicit-def: $sgpr16
	s_mov_b64 s[4:5], s[6:7]
.LBB1_39:                               ;   in Loop: Header=BB1_33 Depth=2
	global_load_dwordx2 v[4:5], v50, s[6:7]
	s_add_i32 s16, s10, -8
	s_add_u32 s4, s6, 8
	s_addc_u32 s5, s7, 0
.LBB1_40:                               ;   in Loop: Header=BB1_33 Depth=2
	s_cmp_gt_u32 s16, 7
	s_cbranch_scc1 .LBB1_44
; %bb.41:                               ;   in Loop: Header=BB1_33 Depth=2
	s_cmp_eq_u32 s16, 0
	s_cbranch_scc1 .LBB1_45
; %bb.42:                               ;   in Loop: Header=BB1_33 Depth=2
	v_mov_b32_e32 v6, 0
	s_mov_b64 s[12:13], 0
	v_mov_b32_e32 v7, 0
	s_mov_b64 s[14:15], 0
.LBB1_43:                               ;   Parent Loop BB1_2 Depth=1
                                        ;     Parent Loop BB1_33 Depth=2
                                        ; =>    This Inner Loop Header: Depth=3
	s_add_u32 s18, s4, s14
	s_addc_u32 s19, s5, s15
	global_load_ubyte v8, v50, s[18:19]
	s_add_u32 s14, s14, 1
	s_addc_u32 s15, s15, 0
	s_waitcnt vmcnt(0)
	v_and_b32_e32 v49, 0xffff, v8
	v_lshlrev_b64 v[8:9], s12, v[49:50]
	s_add_u32 s12, s12, 8
	s_addc_u32 s13, s13, 0
	v_or_b32_e32 v6, v8, v6
	s_cmp_lg_u32 s16, s14
	v_or_b32_e32 v7, v9, v7
	s_cbranch_scc1 .LBB1_43
	s_branch .LBB1_46
.LBB1_44:                               ;   in Loop: Header=BB1_33 Depth=2
                                        ; implicit-def: $vgpr6_vgpr7
                                        ; implicit-def: $sgpr17
	s_branch .LBB1_47
.LBB1_45:                               ;   in Loop: Header=BB1_33 Depth=2
	v_mov_b32_e32 v6, 0
	v_mov_b32_e32 v7, 0
.LBB1_46:                               ;   in Loop: Header=BB1_33 Depth=2
	s_mov_b32 s17, 0
	s_cbranch_execnz .LBB1_48
.LBB1_47:                               ;   in Loop: Header=BB1_33 Depth=2
	global_load_dwordx2 v[6:7], v50, s[4:5]
	s_add_i32 s17, s16, -8
	s_add_u32 s4, s4, 8
	s_addc_u32 s5, s5, 0
.LBB1_48:                               ;   in Loop: Header=BB1_33 Depth=2
	s_cmp_gt_u32 s17, 7
	s_cbranch_scc1 .LBB1_52
; %bb.49:                               ;   in Loop: Header=BB1_33 Depth=2
	s_cmp_eq_u32 s17, 0
	s_cbranch_scc1 .LBB1_53
; %bb.50:                               ;   in Loop: Header=BB1_33 Depth=2
	v_mov_b32_e32 v8, 0
	s_mov_b64 s[12:13], 0
	v_mov_b32_e32 v9, 0
	s_mov_b64 s[14:15], 0
.LBB1_51:                               ;   Parent Loop BB1_2 Depth=1
                                        ;     Parent Loop BB1_33 Depth=2
                                        ; =>    This Inner Loop Header: Depth=3
	s_add_u32 s18, s4, s14
	s_addc_u32 s19, s5, s15
	global_load_ubyte v10, v50, s[18:19]
	s_add_u32 s14, s14, 1
	s_addc_u32 s15, s15, 0
	s_waitcnt vmcnt(0)
	v_and_b32_e32 v49, 0xffff, v10
	v_lshlrev_b64 v[10:11], s12, v[49:50]
	s_add_u32 s12, s12, 8
	s_addc_u32 s13, s13, 0
	v_or_b32_e32 v8, v10, v8
	s_cmp_lg_u32 s17, s14
	v_or_b32_e32 v9, v11, v9
	s_cbranch_scc1 .LBB1_51
	s_branch .LBB1_54
.LBB1_52:                               ;   in Loop: Header=BB1_33 Depth=2
                                        ; implicit-def: $sgpr16
	s_branch .LBB1_55
.LBB1_53:                               ;   in Loop: Header=BB1_33 Depth=2
	v_mov_b32_e32 v8, 0
	v_mov_b32_e32 v9, 0
.LBB1_54:                               ;   in Loop: Header=BB1_33 Depth=2
	s_mov_b32 s16, 0
	s_cbranch_execnz .LBB1_56
.LBB1_55:                               ;   in Loop: Header=BB1_33 Depth=2
	global_load_dwordx2 v[8:9], v50, s[4:5]
	s_add_i32 s16, s17, -8
	s_add_u32 s4, s4, 8
	s_addc_u32 s5, s5, 0
.LBB1_56:                               ;   in Loop: Header=BB1_33 Depth=2
	s_cmp_gt_u32 s16, 7
	s_cbranch_scc1 .LBB1_60
; %bb.57:                               ;   in Loop: Header=BB1_33 Depth=2
	s_cmp_eq_u32 s16, 0
	s_cbranch_scc1 .LBB1_61
; %bb.58:                               ;   in Loop: Header=BB1_33 Depth=2
	v_mov_b32_e32 v10, 0
	s_mov_b64 s[12:13], 0
	v_mov_b32_e32 v11, 0
	s_mov_b64 s[14:15], 0
.LBB1_59:                               ;   Parent Loop BB1_2 Depth=1
                                        ;     Parent Loop BB1_33 Depth=2
                                        ; =>    This Inner Loop Header: Depth=3
	s_add_u32 s18, s4, s14
	s_addc_u32 s19, s5, s15
	global_load_ubyte v12, v50, s[18:19]
	s_add_u32 s14, s14, 1
	s_addc_u32 s15, s15, 0
	s_waitcnt vmcnt(0)
	v_and_b32_e32 v49, 0xffff, v12
	v_lshlrev_b64 v[12:13], s12, v[49:50]
	s_add_u32 s12, s12, 8
	s_addc_u32 s13, s13, 0
	v_or_b32_e32 v10, v12, v10
	s_cmp_lg_u32 s16, s14
	v_or_b32_e32 v11, v13, v11
	s_cbranch_scc1 .LBB1_59
	s_branch .LBB1_62
.LBB1_60:                               ;   in Loop: Header=BB1_33 Depth=2
                                        ; implicit-def: $vgpr10_vgpr11
                                        ; implicit-def: $sgpr17
	s_branch .LBB1_63
.LBB1_61:                               ;   in Loop: Header=BB1_33 Depth=2
	v_mov_b32_e32 v10, 0
	v_mov_b32_e32 v11, 0
.LBB1_62:                               ;   in Loop: Header=BB1_33 Depth=2
	s_mov_b32 s17, 0
	s_cbranch_execnz .LBB1_64
.LBB1_63:                               ;   in Loop: Header=BB1_33 Depth=2
	global_load_dwordx2 v[10:11], v50, s[4:5]
	s_add_i32 s17, s16, -8
	s_add_u32 s4, s4, 8
	s_addc_u32 s5, s5, 0
.LBB1_64:                               ;   in Loop: Header=BB1_33 Depth=2
	s_cmp_gt_u32 s17, 7
	s_cbranch_scc1 .LBB1_68
; %bb.65:                               ;   in Loop: Header=BB1_33 Depth=2
	s_cmp_eq_u32 s17, 0
	s_cbranch_scc1 .LBB1_69
; %bb.66:                               ;   in Loop: Header=BB1_33 Depth=2
	v_mov_b32_e32 v12, 0
	s_mov_b64 s[12:13], 0
	v_mov_b32_e32 v13, 0
	s_mov_b64 s[14:15], 0
.LBB1_67:                               ;   Parent Loop BB1_2 Depth=1
                                        ;     Parent Loop BB1_33 Depth=2
                                        ; =>    This Inner Loop Header: Depth=3
	s_add_u32 s18, s4, s14
	s_addc_u32 s19, s5, s15
	global_load_ubyte v14, v50, s[18:19]
	s_add_u32 s14, s14, 1
	s_addc_u32 s15, s15, 0
	s_waitcnt vmcnt(0)
	v_and_b32_e32 v49, 0xffff, v14
	v_lshlrev_b64 v[14:15], s12, v[49:50]
	s_add_u32 s12, s12, 8
	s_addc_u32 s13, s13, 0
	v_or_b32_e32 v12, v14, v12
	s_cmp_lg_u32 s17, s14
	v_or_b32_e32 v13, v15, v13
	s_cbranch_scc1 .LBB1_67
	s_branch .LBB1_70
.LBB1_68:                               ;   in Loop: Header=BB1_33 Depth=2
                                        ; implicit-def: $sgpr16
	s_branch .LBB1_71
.LBB1_69:                               ;   in Loop: Header=BB1_33 Depth=2
	v_mov_b32_e32 v12, 0
	v_mov_b32_e32 v13, 0
.LBB1_70:                               ;   in Loop: Header=BB1_33 Depth=2
	s_mov_b32 s16, 0
	s_cbranch_execnz .LBB1_72
.LBB1_71:                               ;   in Loop: Header=BB1_33 Depth=2
	global_load_dwordx2 v[12:13], v50, s[4:5]
	s_add_i32 s16, s17, -8
	s_add_u32 s4, s4, 8
	s_addc_u32 s5, s5, 0
.LBB1_72:                               ;   in Loop: Header=BB1_33 Depth=2
	s_cmp_gt_u32 s16, 7
	s_cbranch_scc1 .LBB1_76
; %bb.73:                               ;   in Loop: Header=BB1_33 Depth=2
	s_cmp_eq_u32 s16, 0
	s_cbranch_scc1 .LBB1_77
; %bb.74:                               ;   in Loop: Header=BB1_33 Depth=2
	v_mov_b32_e32 v14, 0
	s_mov_b64 s[12:13], 0
	v_mov_b32_e32 v15, 0
	s_mov_b64 s[14:15], 0
.LBB1_75:                               ;   Parent Loop BB1_2 Depth=1
                                        ;     Parent Loop BB1_33 Depth=2
                                        ; =>    This Inner Loop Header: Depth=3
	s_add_u32 s18, s4, s14
	s_addc_u32 s19, s5, s15
	global_load_ubyte v16, v50, s[18:19]
	s_add_u32 s14, s14, 1
	s_addc_u32 s15, s15, 0
	s_waitcnt vmcnt(0)
	v_and_b32_e32 v49, 0xffff, v16
	v_lshlrev_b64 v[16:17], s12, v[49:50]
	s_add_u32 s12, s12, 8
	s_addc_u32 s13, s13, 0
	v_or_b32_e32 v14, v16, v14
	s_cmp_lg_u32 s16, s14
	v_or_b32_e32 v15, v17, v15
	s_cbranch_scc1 .LBB1_75
	s_branch .LBB1_78
.LBB1_76:                               ;   in Loop: Header=BB1_33 Depth=2
                                        ; implicit-def: $vgpr14_vgpr15
                                        ; implicit-def: $sgpr17
	s_branch .LBB1_79
.LBB1_77:                               ;   in Loop: Header=BB1_33 Depth=2
	v_mov_b32_e32 v14, 0
	v_mov_b32_e32 v15, 0
.LBB1_78:                               ;   in Loop: Header=BB1_33 Depth=2
	s_mov_b32 s17, 0
	s_cbranch_execnz .LBB1_80
.LBB1_79:                               ;   in Loop: Header=BB1_33 Depth=2
	global_load_dwordx2 v[14:15], v50, s[4:5]
	s_add_i32 s17, s16, -8
	s_add_u32 s4, s4, 8
	s_addc_u32 s5, s5, 0
.LBB1_80:                               ;   in Loop: Header=BB1_33 Depth=2
	s_cmp_gt_u32 s17, 7
	s_cbranch_scc1 .LBB1_84
; %bb.81:                               ;   in Loop: Header=BB1_33 Depth=2
	s_cmp_eq_u32 s17, 0
	s_cbranch_scc1 .LBB1_85
; %bb.82:                               ;   in Loop: Header=BB1_33 Depth=2
	v_mov_b32_e32 v16, 0
	s_mov_b64 s[12:13], 0
	v_mov_b32_e32 v17, 0
	s_mov_b64 s[14:15], s[4:5]
.LBB1_83:                               ;   Parent Loop BB1_2 Depth=1
                                        ;     Parent Loop BB1_33 Depth=2
                                        ; =>    This Inner Loop Header: Depth=3
	global_load_ubyte v18, v50, s[14:15]
	s_add_i32 s17, s17, -1
	s_waitcnt vmcnt(0)
	v_and_b32_e32 v49, 0xffff, v18
	v_lshlrev_b64 v[18:19], s12, v[49:50]
	s_add_u32 s12, s12, 8
	s_addc_u32 s13, s13, 0
	s_add_u32 s14, s14, 1
	s_addc_u32 s15, s15, 0
	v_or_b32_e32 v16, v18, v16
	s_cmp_lg_u32 s17, 0
	v_or_b32_e32 v17, v19, v17
	s_cbranch_scc1 .LBB1_83
	s_branch .LBB1_86
.LBB1_84:                               ;   in Loop: Header=BB1_33 Depth=2
	s_branch .LBB1_87
.LBB1_85:                               ;   in Loop: Header=BB1_33 Depth=2
	v_mov_b32_e32 v16, 0
	v_mov_b32_e32 v17, 0
.LBB1_86:                               ;   in Loop: Header=BB1_33 Depth=2
	s_cbranch_execnz .LBB1_88
.LBB1_87:                               ;   in Loop: Header=BB1_33 Depth=2
	global_load_dwordx2 v[16:17], v50, s[4:5]
.LBB1_88:                               ;   in Loop: Header=BB1_33 Depth=2
	v_readfirstlane_b32 s4, v55
	v_mov_b32_e32 v22, 0
	v_mov_b32_e32 v23, 0
	v_cmp_eq_u32_e64 s[4:5], s4, v55
	s_and_saveexec_b64 s[12:13], s[4:5]
	s_cbranch_execz .LBB1_94
; %bb.89:                               ;   in Loop: Header=BB1_33 Depth=2
	global_load_dwordx2 v[20:21], v50, s[28:29] offset:24 glc
	s_waitcnt vmcnt(0)
	buffer_wbinvl1_vol
	global_load_dwordx2 v[18:19], v50, s[28:29] offset:40
	global_load_dwordx2 v[22:23], v50, s[28:29]
	s_waitcnt vmcnt(1)
	v_and_b32_e32 v18, v18, v20
	v_and_b32_e32 v19, v19, v21
	v_mul_lo_u32 v19, v19, 24
	v_mul_hi_u32 v26, v18, 24
	v_mul_lo_u32 v18, v18, 24
	v_add_u32_e32 v19, v26, v19
	s_waitcnt vmcnt(0)
	v_add_co_u32_e32 v18, vcc, v22, v18
	v_addc_co_u32_e32 v19, vcc, v23, v19, vcc
	global_load_dwordx2 v[18:19], v[18:19], off glc
	s_waitcnt vmcnt(0)
	global_atomic_cmpswap_x2 v[22:23], v50, v[18:21], s[28:29] offset:24 glc
	s_waitcnt vmcnt(0)
	buffer_wbinvl1_vol
	v_cmp_ne_u64_e32 vcc, v[22:23], v[20:21]
	s_and_saveexec_b64 s[14:15], vcc
	s_cbranch_execz .LBB1_93
; %bb.90:                               ;   in Loop: Header=BB1_33 Depth=2
	s_mov_b64 s[16:17], 0
.LBB1_91:                               ;   Parent Loop BB1_2 Depth=1
                                        ;     Parent Loop BB1_33 Depth=2
                                        ; =>    This Inner Loop Header: Depth=3
	s_sleep 1
	global_load_dwordx2 v[18:19], v50, s[28:29] offset:40
	global_load_dwordx2 v[26:27], v50, s[28:29]
	v_mov_b32_e32 v20, v22
	v_mov_b32_e32 v21, v23
	s_waitcnt vmcnt(1)
	v_and_b32_e32 v18, v18, v20
	s_waitcnt vmcnt(0)
	v_mad_u64_u32 v[22:23], s[18:19], v18, 24, v[26:27]
	v_and_b32_e32 v19, v19, v21
	v_mov_b32_e32 v18, v23
	v_mad_u64_u32 v[18:19], s[18:19], v19, 24, v[18:19]
	v_mov_b32_e32 v23, v18
	global_load_dwordx2 v[18:19], v[22:23], off glc
	s_waitcnt vmcnt(0)
	global_atomic_cmpswap_x2 v[22:23], v50, v[18:21], s[28:29] offset:24 glc
	s_waitcnt vmcnt(0)
	buffer_wbinvl1_vol
	v_cmp_eq_u64_e32 vcc, v[22:23], v[20:21]
	s_or_b64 s[16:17], vcc, s[16:17]
	s_andn2_b64 exec, exec, s[16:17]
	s_cbranch_execnz .LBB1_91
; %bb.92:                               ;   in Loop: Header=BB1_33 Depth=2
	s_or_b64 exec, exec, s[16:17]
.LBB1_93:                               ;   in Loop: Header=BB1_33 Depth=2
	s_or_b64 exec, exec, s[14:15]
.LBB1_94:                               ;   in Loop: Header=BB1_33 Depth=2
	s_or_b64 exec, exec, s[12:13]
	global_load_dwordx2 v[26:27], v50, s[28:29] offset:40
	global_load_dwordx4 v[18:21], v50, s[28:29]
	v_readfirstlane_b32 s12, v22
	v_readfirstlane_b32 s13, v23
	s_mov_b64 s[14:15], exec
	s_waitcnt vmcnt(1)
	v_readfirstlane_b32 s16, v26
	v_readfirstlane_b32 s17, v27
	s_and_b64 s[16:17], s[12:13], s[16:17]
	s_mul_i32 s18, s17, 24
	s_mul_hi_u32 s19, s16, 24
	s_mul_i32 s20, s16, 24
	s_add_i32 s18, s19, s18
	v_mov_b32_e32 v23, s18
	s_waitcnt vmcnt(0)
	v_add_co_u32_e32 v22, vcc, s20, v18
	v_addc_co_u32_e32 v23, vcc, v19, v23, vcc
	s_and_saveexec_b64 s[18:19], s[4:5]
	s_cbranch_execz .LBB1_96
; %bb.95:                               ;   in Loop: Header=BB1_33 Depth=2
	v_mov_b32_e32 v52, s15
	v_mov_b32_e32 v51, s14
	global_store_dwordx4 v[22:23], v[51:54], off offset:8
.LBB1_96:                               ;   in Loop: Header=BB1_33 Depth=2
	s_or_b64 exec, exec, s[18:19]
	s_lshl_b64 s[14:15], s[16:17], 12
	v_mov_b32_e32 v26, s15
	v_add_co_u32_e32 v20, vcc, s14, v20
	v_addc_co_u32_e32 v21, vcc, v21, v26, vcc
	v_cmp_gt_u64_e64 vcc, s[8:9], 56
	v_or_b32_e32 v27, v2, v25
	s_lshl_b32 s14, s10, 2
	v_cndmask_b32_e32 v2, v27, v2, vcc
	s_add_i32 s14, s14, 28
	v_or_b32_e32 v26, 0, v3
	s_and_b32 s14, s14, 0x1e0
	v_and_b32_e32 v2, 0xffffff1f, v2
	v_cndmask_b32_e32 v3, v26, v3, vcc
	v_or_b32_e32 v2, s14, v2
	v_lshlrev_b32_e32 v26, 6, v55
	v_readfirstlane_b32 s14, v20
	v_readfirstlane_b32 s15, v21
	s_nop 4
	global_store_dwordx4 v26, v[2:5], s[14:15]
	global_store_dwordx4 v26, v[6:9], s[14:15] offset:16
	global_store_dwordx4 v26, v[10:13], s[14:15] offset:32
	global_store_dwordx4 v26, v[14:17], s[14:15] offset:48
	s_and_saveexec_b64 s[14:15], s[4:5]
	s_cbranch_execz .LBB1_104
; %bb.97:                               ;   in Loop: Header=BB1_33 Depth=2
	global_load_dwordx2 v[10:11], v50, s[28:29] offset:32 glc
	global_load_dwordx2 v[2:3], v50, s[28:29] offset:40
	v_mov_b32_e32 v8, s12
	v_mov_b32_e32 v9, s13
	s_waitcnt vmcnt(0)
	v_readfirstlane_b32 s16, v2
	v_readfirstlane_b32 s17, v3
	s_and_b64 s[16:17], s[16:17], s[12:13]
	s_mul_i32 s17, s17, 24
	s_mul_hi_u32 s18, s16, 24
	s_mul_i32 s16, s16, 24
	s_add_i32 s17, s18, s17
	v_mov_b32_e32 v2, s17
	v_add_co_u32_e32 v6, vcc, s16, v18
	v_addc_co_u32_e32 v7, vcc, v19, v2, vcc
	global_store_dwordx2 v[6:7], v[10:11], off
	s_waitcnt vmcnt(0)
	global_atomic_cmpswap_x2 v[4:5], v50, v[8:11], s[28:29] offset:32 glc
	s_waitcnt vmcnt(0)
	v_cmp_ne_u64_e32 vcc, v[4:5], v[10:11]
	s_and_saveexec_b64 s[16:17], vcc
	s_cbranch_execz .LBB1_100
; %bb.98:                               ;   in Loop: Header=BB1_33 Depth=2
	s_mov_b64 s[18:19], 0
.LBB1_99:                               ;   Parent Loop BB1_2 Depth=1
                                        ;     Parent Loop BB1_33 Depth=2
                                        ; =>    This Inner Loop Header: Depth=3
	s_sleep 1
	global_store_dwordx2 v[6:7], v[4:5], off
	v_mov_b32_e32 v2, s12
	v_mov_b32_e32 v3, s13
	s_waitcnt vmcnt(0)
	global_atomic_cmpswap_x2 v[2:3], v50, v[2:5], s[28:29] offset:32 glc
	s_waitcnt vmcnt(0)
	v_cmp_eq_u64_e32 vcc, v[2:3], v[4:5]
	v_mov_b32_e32 v5, v3
	s_or_b64 s[18:19], vcc, s[18:19]
	v_mov_b32_e32 v4, v2
	s_andn2_b64 exec, exec, s[18:19]
	s_cbranch_execnz .LBB1_99
.LBB1_100:                              ;   in Loop: Header=BB1_33 Depth=2
	s_or_b64 exec, exec, s[16:17]
	global_load_dwordx2 v[2:3], v50, s[28:29] offset:16
	s_mov_b64 s[18:19], exec
	v_mbcnt_lo_u32_b32 v4, s18, 0
	v_mbcnt_hi_u32_b32 v4, s19, v4
	v_cmp_eq_u32_e32 vcc, 0, v4
	s_and_saveexec_b64 s[16:17], vcc
	s_cbranch_execz .LBB1_102
; %bb.101:                              ;   in Loop: Header=BB1_33 Depth=2
	s_bcnt1_i32_b64 s18, s[18:19]
	v_mov_b32_e32 v49, s18
	s_waitcnt vmcnt(0)
	global_atomic_add_x2 v[2:3], v[49:50], off offset:8
.LBB1_102:                              ;   in Loop: Header=BB1_33 Depth=2
	s_or_b64 exec, exec, s[16:17]
	s_waitcnt vmcnt(0)
	global_load_dwordx2 v[4:5], v[2:3], off offset:16
	s_waitcnt vmcnt(0)
	v_cmp_eq_u64_e32 vcc, 0, v[4:5]
	s_cbranch_vccnz .LBB1_104
; %bb.103:                              ;   in Loop: Header=BB1_33 Depth=2
	global_load_dword v49, v[2:3], off offset:24
	s_waitcnt vmcnt(0)
	v_and_b32_e32 v2, 0xffffff, v49
	v_readfirstlane_b32 m0, v2
	global_store_dwordx2 v[4:5], v[49:50], off
	s_sendmsg sendmsg(MSG_INTERRUPT)
.LBB1_104:                              ;   in Loop: Header=BB1_33 Depth=2
	s_or_b64 exec, exec, s[14:15]
	v_add_co_u32_e32 v2, vcc, v20, v26
	v_addc_co_u32_e32 v3, vcc, 0, v21, vcc
	s_branch .LBB1_108
.LBB1_105:                              ;   in Loop: Header=BB1_108 Depth=3
	s_or_b64 exec, exec, s[14:15]
	v_readfirstlane_b32 s14, v4
	s_cmp_eq_u32 s14, 0
	s_cbranch_scc1 .LBB1_107
; %bb.106:                              ;   in Loop: Header=BB1_108 Depth=3
	s_sleep 1
	s_cbranch_execnz .LBB1_108
	s_branch .LBB1_110
.LBB1_107:                              ;   in Loop: Header=BB1_33 Depth=2
	s_branch .LBB1_110
.LBB1_108:                              ;   Parent Loop BB1_2 Depth=1
                                        ;     Parent Loop BB1_33 Depth=2
                                        ; =>    This Inner Loop Header: Depth=3
	v_mov_b32_e32 v4, 1
	s_and_saveexec_b64 s[14:15], s[4:5]
	s_cbranch_execz .LBB1_105
; %bb.109:                              ;   in Loop: Header=BB1_108 Depth=3
	global_load_dword v4, v[22:23], off offset:20 glc
	s_waitcnt vmcnt(0)
	buffer_wbinvl1_vol
	v_and_b32_e32 v4, 1, v4
	s_branch .LBB1_105
.LBB1_110:                              ;   in Loop: Header=BB1_33 Depth=2
	global_load_dwordx4 v[2:5], v[2:3], off
	s_and_saveexec_b64 s[14:15], s[4:5]
	s_cbranch_execz .LBB1_32
; %bb.111:                              ;   in Loop: Header=BB1_33 Depth=2
	global_load_dwordx2 v[6:7], v50, s[28:29] offset:40
	global_load_dwordx2 v[10:11], v50, s[28:29] offset:24 glc
	global_load_dwordx2 v[8:9], v50, s[28:29]
	s_waitcnt vmcnt(3)
	v_mov_b32_e32 v5, s13
	s_waitcnt vmcnt(2)
	v_add_co_u32_e32 v12, vcc, 1, v6
	v_addc_co_u32_e32 v13, vcc, 0, v7, vcc
	v_add_co_u32_e32 v4, vcc, s12, v12
	v_addc_co_u32_e32 v5, vcc, v13, v5, vcc
	v_cmp_eq_u64_e32 vcc, 0, v[4:5]
	v_cndmask_b32_e32 v5, v5, v13, vcc
	v_cndmask_b32_e32 v4, v4, v12, vcc
	v_and_b32_e32 v7, v5, v7
	v_and_b32_e32 v6, v4, v6
	v_mul_lo_u32 v7, v7, 24
	v_mul_hi_u32 v12, v6, 24
	v_mul_lo_u32 v13, v6, 24
	s_waitcnt vmcnt(1)
	v_mov_b32_e32 v6, v10
	v_add_u32_e32 v7, v12, v7
	s_waitcnt vmcnt(0)
	v_add_co_u32_e32 v8, vcc, v8, v13
	v_addc_co_u32_e32 v9, vcc, v9, v7, vcc
	global_store_dwordx2 v[8:9], v[10:11], off
	v_mov_b32_e32 v7, v11
	s_waitcnt vmcnt(0)
	global_atomic_cmpswap_x2 v[6:7], v50, v[4:7], s[28:29] offset:24 glc
	s_waitcnt vmcnt(0)
	v_cmp_ne_u64_e32 vcc, v[6:7], v[10:11]
	s_and_b64 exec, exec, vcc
	s_cbranch_execz .LBB1_32
; %bb.112:                              ;   in Loop: Header=BB1_33 Depth=2
	s_mov_b64 s[4:5], 0
.LBB1_113:                              ;   Parent Loop BB1_2 Depth=1
                                        ;     Parent Loop BB1_33 Depth=2
                                        ; =>    This Inner Loop Header: Depth=3
	s_sleep 1
	global_store_dwordx2 v[8:9], v[6:7], off
	s_waitcnt vmcnt(0)
	global_atomic_cmpswap_x2 v[10:11], v50, v[4:7], s[28:29] offset:24 glc
	s_waitcnt vmcnt(0)
	v_cmp_eq_u64_e32 vcc, v[10:11], v[6:7]
	v_mov_b32_e32 v6, v10
	s_or_b64 s[4:5], vcc, s[4:5]
	v_mov_b32_e32 v7, v11
	s_andn2_b64 exec, exec, s[4:5]
	s_cbranch_execnz .LBB1_113
	s_branch .LBB1_32
.LBB1_114:                              ;   in Loop: Header=BB1_2 Depth=1
	s_branch .LBB1_143
.LBB1_115:                              ;   in Loop: Header=BB1_2 Depth=1
                                        ; implicit-def: $vgpr2_vgpr3
	s_cbranch_execz .LBB1_143
; %bb.116:                              ;   in Loop: Header=BB1_2 Depth=1
	v_readfirstlane_b32 s4, v55
	s_waitcnt vmcnt(0)
	v_mov_b32_e32 v2, 0
	v_mov_b32_e32 v3, 0
	v_cmp_eq_u32_e64 s[4:5], s4, v55
	s_and_saveexec_b64 s[6:7], s[4:5]
	s_cbranch_execz .LBB1_122
; %bb.117:                              ;   in Loop: Header=BB1_2 Depth=1
	global_load_dwordx2 v[4:5], v50, s[28:29] offset:24 glc
	s_waitcnt vmcnt(0)
	buffer_wbinvl1_vol
	global_load_dwordx2 v[2:3], v50, s[28:29] offset:40
	global_load_dwordx2 v[6:7], v50, s[28:29]
	s_waitcnt vmcnt(1)
	v_and_b32_e32 v2, v2, v4
	v_and_b32_e32 v3, v3, v5
	v_mul_lo_u32 v3, v3, 24
	v_mul_hi_u32 v8, v2, 24
	v_mul_lo_u32 v2, v2, 24
	v_add_u32_e32 v3, v8, v3
	s_waitcnt vmcnt(0)
	v_add_co_u32_e32 v2, vcc, v6, v2
	v_addc_co_u32_e32 v3, vcc, v7, v3, vcc
	global_load_dwordx2 v[2:3], v[2:3], off glc
	s_waitcnt vmcnt(0)
	global_atomic_cmpswap_x2 v[2:3], v50, v[2:5], s[28:29] offset:24 glc
	s_waitcnt vmcnt(0)
	buffer_wbinvl1_vol
	v_cmp_ne_u64_e32 vcc, v[2:3], v[4:5]
	s_and_saveexec_b64 s[8:9], vcc
	s_cbranch_execz .LBB1_121
; %bb.118:                              ;   in Loop: Header=BB1_2 Depth=1
	s_mov_b64 s[10:11], 0
.LBB1_119:                              ;   Parent Loop BB1_2 Depth=1
                                        ; =>  This Inner Loop Header: Depth=2
	s_sleep 1
	global_load_dwordx2 v[6:7], v50, s[28:29] offset:40
	global_load_dwordx2 v[8:9], v50, s[28:29]
	v_mov_b32_e32 v5, v3
	v_mov_b32_e32 v4, v2
	s_waitcnt vmcnt(1)
	v_and_b32_e32 v2, v6, v4
	s_waitcnt vmcnt(0)
	v_mad_u64_u32 v[2:3], s[12:13], v2, 24, v[8:9]
	v_and_b32_e32 v6, v7, v5
	v_mad_u64_u32 v[6:7], s[12:13], v6, 24, v[3:4]
	v_mov_b32_e32 v3, v6
	global_load_dwordx2 v[2:3], v[2:3], off glc
	s_waitcnt vmcnt(0)
	global_atomic_cmpswap_x2 v[2:3], v50, v[2:5], s[28:29] offset:24 glc
	s_waitcnt vmcnt(0)
	buffer_wbinvl1_vol
	v_cmp_eq_u64_e32 vcc, v[2:3], v[4:5]
	s_or_b64 s[10:11], vcc, s[10:11]
	s_andn2_b64 exec, exec, s[10:11]
	s_cbranch_execnz .LBB1_119
; %bb.120:                              ;   in Loop: Header=BB1_2 Depth=1
	s_or_b64 exec, exec, s[10:11]
.LBB1_121:                              ;   in Loop: Header=BB1_2 Depth=1
	s_or_b64 exec, exec, s[8:9]
.LBB1_122:                              ;   in Loop: Header=BB1_2 Depth=1
	s_or_b64 exec, exec, s[6:7]
	global_load_dwordx2 v[8:9], v50, s[28:29] offset:40
	global_load_dwordx4 v[4:7], v50, s[28:29]
	v_readfirstlane_b32 s6, v2
	v_readfirstlane_b32 s7, v3
	s_mov_b64 s[8:9], exec
	s_waitcnt vmcnt(1)
	v_readfirstlane_b32 s10, v8
	v_readfirstlane_b32 s11, v9
	s_and_b64 s[10:11], s[6:7], s[10:11]
	s_mul_i32 s12, s11, 24
	s_mul_hi_u32 s13, s10, 24
	s_mul_i32 s14, s10, 24
	s_add_i32 s12, s13, s12
	v_mov_b32_e32 v2, s12
	s_waitcnt vmcnt(0)
	v_add_co_u32_e32 v8, vcc, s14, v4
	v_addc_co_u32_e32 v9, vcc, v5, v2, vcc
	s_and_saveexec_b64 s[12:13], s[4:5]
	s_cbranch_execz .LBB1_124
; %bb.123:                              ;   in Loop: Header=BB1_2 Depth=1
	v_mov_b32_e32 v52, s9
	v_mov_b32_e32 v51, s8
	global_store_dwordx4 v[8:9], v[51:54], off offset:8
.LBB1_124:                              ;   in Loop: Header=BB1_2 Depth=1
	s_or_b64 exec, exec, s[12:13]
	s_lshl_b64 s[8:9], s[10:11], 12
	v_mov_b32_e32 v2, s9
	v_add_co_u32_e32 v6, vcc, s8, v6
	v_addc_co_u32_e32 v7, vcc, v7, v2, vcc
	v_and_or_b32 v0, v0, s23, 32
	v_lshlrev_b32_e32 v10, 6, v55
	v_mov_b32_e32 v2, v50
	v_mov_b32_e32 v3, v50
	v_readfirstlane_b32 s8, v6
	v_readfirstlane_b32 s9, v7
	s_nop 4
	global_store_dwordx4 v10, v[0:3], s[8:9]
	s_nop 0
	v_mov_b32_e32 v0, s36
	v_mov_b32_e32 v1, s37
	;; [unrolled: 1-line block ×4, first 2 shown]
	global_store_dwordx4 v10, v[0:3], s[8:9] offset:16
	global_store_dwordx4 v10, v[0:3], s[8:9] offset:32
	;; [unrolled: 1-line block ×3, first 2 shown]
	s_and_saveexec_b64 s[8:9], s[4:5]
	s_cbranch_execz .LBB1_132
; %bb.125:                              ;   in Loop: Header=BB1_2 Depth=1
	global_load_dwordx2 v[13:14], v50, s[28:29] offset:32 glc
	global_load_dwordx2 v[0:1], v50, s[28:29] offset:40
	v_mov_b32_e32 v11, s6
	v_mov_b32_e32 v12, s7
	s_waitcnt vmcnt(0)
	v_readfirstlane_b32 s10, v0
	v_readfirstlane_b32 s11, v1
	s_and_b64 s[10:11], s[10:11], s[6:7]
	s_mul_i32 s11, s11, 24
	s_mul_hi_u32 s12, s10, 24
	s_mul_i32 s10, s10, 24
	s_add_i32 s11, s12, s11
	v_mov_b32_e32 v0, s11
	v_add_co_u32_e32 v4, vcc, s10, v4
	v_addc_co_u32_e32 v5, vcc, v5, v0, vcc
	global_store_dwordx2 v[4:5], v[13:14], off
	s_waitcnt vmcnt(0)
	global_atomic_cmpswap_x2 v[2:3], v50, v[11:14], s[28:29] offset:32 glc
	s_waitcnt vmcnt(0)
	v_cmp_ne_u64_e32 vcc, v[2:3], v[13:14]
	s_and_saveexec_b64 s[10:11], vcc
	s_cbranch_execz .LBB1_128
; %bb.126:                              ;   in Loop: Header=BB1_2 Depth=1
	s_mov_b64 s[12:13], 0
.LBB1_127:                              ;   Parent Loop BB1_2 Depth=1
                                        ; =>  This Inner Loop Header: Depth=2
	s_sleep 1
	global_store_dwordx2 v[4:5], v[2:3], off
	v_mov_b32_e32 v0, s6
	v_mov_b32_e32 v1, s7
	s_waitcnt vmcnt(0)
	global_atomic_cmpswap_x2 v[0:1], v50, v[0:3], s[28:29] offset:32 glc
	s_waitcnt vmcnt(0)
	v_cmp_eq_u64_e32 vcc, v[0:1], v[2:3]
	v_mov_b32_e32 v3, v1
	s_or_b64 s[12:13], vcc, s[12:13]
	v_mov_b32_e32 v2, v0
	s_andn2_b64 exec, exec, s[12:13]
	s_cbranch_execnz .LBB1_127
.LBB1_128:                              ;   in Loop: Header=BB1_2 Depth=1
	s_or_b64 exec, exec, s[10:11]
	global_load_dwordx2 v[0:1], v50, s[28:29] offset:16
	s_mov_b64 s[12:13], exec
	v_mbcnt_lo_u32_b32 v2, s12, 0
	v_mbcnt_hi_u32_b32 v2, s13, v2
	v_cmp_eq_u32_e32 vcc, 0, v2
	s_and_saveexec_b64 s[10:11], vcc
	s_cbranch_execz .LBB1_130
; %bb.129:                              ;   in Loop: Header=BB1_2 Depth=1
	s_bcnt1_i32_b64 s12, s[12:13]
	v_mov_b32_e32 v49, s12
	s_waitcnt vmcnt(0)
	global_atomic_add_x2 v[0:1], v[49:50], off offset:8
.LBB1_130:                              ;   in Loop: Header=BB1_2 Depth=1
	s_or_b64 exec, exec, s[10:11]
	s_waitcnt vmcnt(0)
	global_load_dwordx2 v[2:3], v[0:1], off offset:16
	s_waitcnt vmcnt(0)
	v_cmp_eq_u64_e32 vcc, 0, v[2:3]
	s_cbranch_vccnz .LBB1_132
; %bb.131:                              ;   in Loop: Header=BB1_2 Depth=1
	global_load_dword v49, v[0:1], off offset:24
	s_waitcnt vmcnt(0)
	v_and_b32_e32 v0, 0xffffff, v49
	v_readfirstlane_b32 m0, v0
	global_store_dwordx2 v[2:3], v[49:50], off
	s_sendmsg sendmsg(MSG_INTERRUPT)
.LBB1_132:                              ;   in Loop: Header=BB1_2 Depth=1
	s_or_b64 exec, exec, s[8:9]
	v_add_co_u32_e32 v0, vcc, v6, v10
	v_addc_co_u32_e32 v1, vcc, 0, v7, vcc
	s_branch .LBB1_136
.LBB1_133:                              ;   in Loop: Header=BB1_136 Depth=2
	s_or_b64 exec, exec, s[8:9]
	v_readfirstlane_b32 s8, v2
	s_cmp_eq_u32 s8, 0
	s_cbranch_scc1 .LBB1_135
; %bb.134:                              ;   in Loop: Header=BB1_136 Depth=2
	s_sleep 1
	s_cbranch_execnz .LBB1_136
	s_branch .LBB1_138
.LBB1_135:                              ;   in Loop: Header=BB1_2 Depth=1
	s_branch .LBB1_138
.LBB1_136:                              ;   Parent Loop BB1_2 Depth=1
                                        ; =>  This Inner Loop Header: Depth=2
	v_mov_b32_e32 v2, 1
	s_and_saveexec_b64 s[8:9], s[4:5]
	s_cbranch_execz .LBB1_133
; %bb.137:                              ;   in Loop: Header=BB1_136 Depth=2
	global_load_dword v2, v[8:9], off offset:20 glc
	s_waitcnt vmcnt(0)
	buffer_wbinvl1_vol
	v_and_b32_e32 v2, 1, v2
	s_branch .LBB1_133
.LBB1_138:                              ;   in Loop: Header=BB1_2 Depth=1
	global_load_dwordx2 v[2:3], v[0:1], off
	s_and_saveexec_b64 s[8:9], s[4:5]
	s_cbranch_execz .LBB1_142
; %bb.139:                              ;   in Loop: Header=BB1_2 Depth=1
	global_load_dwordx2 v[0:1], v50, s[28:29] offset:40
	global_load_dwordx2 v[8:9], v50, s[28:29] offset:24 glc
	global_load_dwordx2 v[10:11], v50, s[28:29]
	v_mov_b32_e32 v5, s7
	s_waitcnt vmcnt(2)
	v_add_co_u32_e32 v6, vcc, 1, v0
	v_addc_co_u32_e32 v7, vcc, 0, v1, vcc
	v_add_co_u32_e32 v4, vcc, s6, v6
	v_addc_co_u32_e32 v5, vcc, v7, v5, vcc
	v_cmp_eq_u64_e32 vcc, 0, v[4:5]
	v_cndmask_b32_e32 v5, v5, v7, vcc
	v_cndmask_b32_e32 v4, v4, v6, vcc
	v_and_b32_e32 v1, v5, v1
	v_and_b32_e32 v0, v4, v0
	v_mul_lo_u32 v1, v1, 24
	v_mul_hi_u32 v7, v0, 24
	v_mul_lo_u32 v0, v0, 24
	s_waitcnt vmcnt(1)
	v_mov_b32_e32 v6, v8
	v_add_u32_e32 v1, v7, v1
	s_waitcnt vmcnt(0)
	v_add_co_u32_e32 v0, vcc, v10, v0
	v_addc_co_u32_e32 v1, vcc, v11, v1, vcc
	global_store_dwordx2 v[0:1], v[8:9], off
	v_mov_b32_e32 v7, v9
	s_waitcnt vmcnt(0)
	global_atomic_cmpswap_x2 v[6:7], v50, v[4:7], s[28:29] offset:24 glc
	s_waitcnt vmcnt(0)
	v_cmp_ne_u64_e32 vcc, v[6:7], v[8:9]
	s_and_b64 exec, exec, vcc
	s_cbranch_execz .LBB1_142
; %bb.140:                              ;   in Loop: Header=BB1_2 Depth=1
	s_mov_b64 s[4:5], 0
.LBB1_141:                              ;   Parent Loop BB1_2 Depth=1
                                        ; =>  This Inner Loop Header: Depth=2
	s_sleep 1
	global_store_dwordx2 v[0:1], v[6:7], off
	s_waitcnt vmcnt(0)
	global_atomic_cmpswap_x2 v[8:9], v50, v[4:7], s[28:29] offset:24 glc
	s_waitcnt vmcnt(0)
	v_cmp_eq_u64_e32 vcc, v[8:9], v[6:7]
	v_mov_b32_e32 v6, v8
	s_or_b64 s[4:5], vcc, s[4:5]
	v_mov_b32_e32 v7, v9
	s_andn2_b64 exec, exec, s[4:5]
	s_cbranch_execnz .LBB1_141
.LBB1_142:                              ;   in Loop: Header=BB1_2 Depth=1
	s_or_b64 exec, exec, s[8:9]
.LBB1_143:                              ;   in Loop: Header=BB1_2 Depth=1
	v_readfirstlane_b32 s4, v55
	s_waitcnt vmcnt(0)
	v_mov_b32_e32 v0, 0
	v_mov_b32_e32 v1, 0
	v_cmp_eq_u32_e64 s[4:5], s4, v55
	s_and_saveexec_b64 s[6:7], s[4:5]
	s_cbranch_execz .LBB1_149
; %bb.144:                              ;   in Loop: Header=BB1_2 Depth=1
	global_load_dwordx2 v[6:7], v50, s[28:29] offset:24 glc
	s_waitcnt vmcnt(0)
	buffer_wbinvl1_vol
	global_load_dwordx2 v[0:1], v50, s[28:29] offset:40
	global_load_dwordx2 v[4:5], v50, s[28:29]
	s_waitcnt vmcnt(1)
	v_and_b32_e32 v0, v0, v6
	v_and_b32_e32 v1, v1, v7
	v_mul_lo_u32 v1, v1, 24
	v_mul_hi_u32 v8, v0, 24
	v_mul_lo_u32 v0, v0, 24
	v_add_u32_e32 v1, v8, v1
	s_waitcnt vmcnt(0)
	v_add_co_u32_e32 v0, vcc, v4, v0
	v_addc_co_u32_e32 v1, vcc, v5, v1, vcc
	global_load_dwordx2 v[4:5], v[0:1], off glc
	s_waitcnt vmcnt(0)
	global_atomic_cmpswap_x2 v[0:1], v50, v[4:7], s[28:29] offset:24 glc
	s_waitcnt vmcnt(0)
	buffer_wbinvl1_vol
	v_cmp_ne_u64_e32 vcc, v[0:1], v[6:7]
	s_and_saveexec_b64 s[8:9], vcc
	s_cbranch_execz .LBB1_148
; %bb.145:                              ;   in Loop: Header=BB1_2 Depth=1
	s_mov_b64 s[10:11], 0
.LBB1_146:                              ;   Parent Loop BB1_2 Depth=1
                                        ; =>  This Inner Loop Header: Depth=2
	s_sleep 1
	global_load_dwordx2 v[4:5], v50, s[28:29] offset:40
	global_load_dwordx2 v[8:9], v50, s[28:29]
	v_mov_b32_e32 v7, v1
	v_mov_b32_e32 v6, v0
	s_waitcnt vmcnt(1)
	v_and_b32_e32 v0, v4, v6
	s_waitcnt vmcnt(0)
	v_mad_u64_u32 v[0:1], s[12:13], v0, 24, v[8:9]
	v_and_b32_e32 v4, v5, v7
	v_mad_u64_u32 v[4:5], s[12:13], v4, 24, v[1:2]
	v_mov_b32_e32 v1, v4
	global_load_dwordx2 v[4:5], v[0:1], off glc
	s_waitcnt vmcnt(0)
	global_atomic_cmpswap_x2 v[0:1], v50, v[4:7], s[28:29] offset:24 glc
	s_waitcnt vmcnt(0)
	buffer_wbinvl1_vol
	v_cmp_eq_u64_e32 vcc, v[0:1], v[6:7]
	s_or_b64 s[10:11], vcc, s[10:11]
	s_andn2_b64 exec, exec, s[10:11]
	s_cbranch_execnz .LBB1_146
; %bb.147:                              ;   in Loop: Header=BB1_2 Depth=1
	s_or_b64 exec, exec, s[10:11]
.LBB1_148:                              ;   in Loop: Header=BB1_2 Depth=1
	s_or_b64 exec, exec, s[8:9]
.LBB1_149:                              ;   in Loop: Header=BB1_2 Depth=1
	s_or_b64 exec, exec, s[6:7]
	global_load_dwordx2 v[4:5], v50, s[28:29] offset:40
	global_load_dwordx4 v[6:9], v50, s[28:29]
	v_readfirstlane_b32 s6, v0
	v_readfirstlane_b32 s7, v1
	s_mov_b64 s[8:9], exec
	s_waitcnt vmcnt(1)
	v_readfirstlane_b32 s10, v4
	v_readfirstlane_b32 s11, v5
	s_and_b64 s[10:11], s[6:7], s[10:11]
	s_mul_i32 s12, s11, 24
	s_mul_hi_u32 s13, s10, 24
	s_mul_i32 s14, s10, 24
	s_add_i32 s12, s13, s12
	v_mov_b32_e32 v0, s12
	s_waitcnt vmcnt(0)
	v_add_co_u32_e32 v10, vcc, s14, v6
	v_addc_co_u32_e32 v11, vcc, v7, v0, vcc
	s_and_saveexec_b64 s[12:13], s[4:5]
	s_cbranch_execz .LBB1_151
; %bb.150:                              ;   in Loop: Header=BB1_2 Depth=1
	v_mov_b32_e32 v52, s9
	v_mov_b32_e32 v51, s8
	global_store_dwordx4 v[10:11], v[51:54], off offset:8
.LBB1_151:                              ;   in Loop: Header=BB1_2 Depth=1
	s_or_b64 exec, exec, s[12:13]
	s_lshl_b64 s[8:9], s[10:11], 12
	v_mov_b32_e32 v0, s9
	v_add_co_u32_e32 v1, vcc, s8, v8
	v_addc_co_u32_e32 v0, vcc, v9, v0, vcc
	v_and_or_b32 v2, v2, s40, 34
	v_ashrrev_i32_e32 v5, 31, v24
	v_lshlrev_b32_e32 v8, 6, v55
	v_mov_b32_e32 v4, v24
	v_readfirstlane_b32 s8, v1
	v_readfirstlane_b32 s9, v0
	s_nop 4
	global_store_dwordx4 v8, v[2:5], s[8:9]
	v_mov_b32_e32 v0, s36
	v_mov_b32_e32 v1, s37
	;; [unrolled: 1-line block ×4, first 2 shown]
	global_store_dwordx4 v8, v[0:3], s[8:9] offset:16
	global_store_dwordx4 v8, v[0:3], s[8:9] offset:32
	;; [unrolled: 1-line block ×3, first 2 shown]
	s_and_saveexec_b64 s[8:9], s[4:5]
	s_cbranch_execz .LBB1_159
; %bb.152:                              ;   in Loop: Header=BB1_2 Depth=1
	global_load_dwordx2 v[14:15], v50, s[28:29] offset:32 glc
	global_load_dwordx2 v[0:1], v50, s[28:29] offset:40
	v_mov_b32_e32 v12, s6
	v_mov_b32_e32 v13, s7
	s_waitcnt vmcnt(0)
	v_readfirstlane_b32 s10, v0
	v_readfirstlane_b32 s11, v1
	s_and_b64 s[10:11], s[10:11], s[6:7]
	s_mul_i32 s11, s11, 24
	s_mul_hi_u32 s12, s10, 24
	s_mul_i32 s10, s10, 24
	s_add_i32 s11, s12, s11
	v_mov_b32_e32 v0, s11
	v_add_co_u32_e32 v4, vcc, s10, v6
	v_addc_co_u32_e32 v5, vcc, v7, v0, vcc
	global_store_dwordx2 v[4:5], v[14:15], off
	s_waitcnt vmcnt(0)
	global_atomic_cmpswap_x2 v[2:3], v50, v[12:15], s[28:29] offset:32 glc
	s_waitcnt vmcnt(0)
	v_cmp_ne_u64_e32 vcc, v[2:3], v[14:15]
	s_and_saveexec_b64 s[10:11], vcc
	s_cbranch_execz .LBB1_155
; %bb.153:                              ;   in Loop: Header=BB1_2 Depth=1
	s_mov_b64 s[12:13], 0
.LBB1_154:                              ;   Parent Loop BB1_2 Depth=1
                                        ; =>  This Inner Loop Header: Depth=2
	s_sleep 1
	global_store_dwordx2 v[4:5], v[2:3], off
	v_mov_b32_e32 v0, s6
	v_mov_b32_e32 v1, s7
	s_waitcnt vmcnt(0)
	global_atomic_cmpswap_x2 v[0:1], v50, v[0:3], s[28:29] offset:32 glc
	s_waitcnt vmcnt(0)
	v_cmp_eq_u64_e32 vcc, v[0:1], v[2:3]
	v_mov_b32_e32 v3, v1
	s_or_b64 s[12:13], vcc, s[12:13]
	v_mov_b32_e32 v2, v0
	s_andn2_b64 exec, exec, s[12:13]
	s_cbranch_execnz .LBB1_154
.LBB1_155:                              ;   in Loop: Header=BB1_2 Depth=1
	s_or_b64 exec, exec, s[10:11]
	global_load_dwordx2 v[0:1], v50, s[28:29] offset:16
	s_mov_b64 s[12:13], exec
	v_mbcnt_lo_u32_b32 v2, s12, 0
	v_mbcnt_hi_u32_b32 v2, s13, v2
	v_cmp_eq_u32_e32 vcc, 0, v2
	s_and_saveexec_b64 s[10:11], vcc
	s_cbranch_execz .LBB1_157
; %bb.156:                              ;   in Loop: Header=BB1_2 Depth=1
	s_bcnt1_i32_b64 s12, s[12:13]
	v_mov_b32_e32 v49, s12
	s_waitcnt vmcnt(0)
	global_atomic_add_x2 v[0:1], v[49:50], off offset:8
.LBB1_157:                              ;   in Loop: Header=BB1_2 Depth=1
	s_or_b64 exec, exec, s[10:11]
	s_waitcnt vmcnt(0)
	global_load_dwordx2 v[2:3], v[0:1], off offset:16
	s_waitcnt vmcnt(0)
	v_cmp_eq_u64_e32 vcc, 0, v[2:3]
	s_cbranch_vccnz .LBB1_159
; %bb.158:                              ;   in Loop: Header=BB1_2 Depth=1
	global_load_dword v49, v[0:1], off offset:24
	s_waitcnt vmcnt(0)
	v_and_b32_e32 v0, 0xffffff, v49
	v_readfirstlane_b32 m0, v0
	global_store_dwordx2 v[2:3], v[49:50], off
	s_sendmsg sendmsg(MSG_INTERRUPT)
.LBB1_159:                              ;   in Loop: Header=BB1_2 Depth=1
	s_or_b64 exec, exec, s[8:9]
	s_branch .LBB1_163
.LBB1_160:                              ;   in Loop: Header=BB1_163 Depth=2
	s_or_b64 exec, exec, s[8:9]
	v_readfirstlane_b32 s8, v0
	s_cmp_eq_u32 s8, 0
	s_cbranch_scc1 .LBB1_162
; %bb.161:                              ;   in Loop: Header=BB1_163 Depth=2
	s_sleep 1
	s_cbranch_execnz .LBB1_163
	s_branch .LBB1_165
.LBB1_162:                              ;   in Loop: Header=BB1_2 Depth=1
	s_branch .LBB1_165
.LBB1_163:                              ;   Parent Loop BB1_2 Depth=1
                                        ; =>  This Inner Loop Header: Depth=2
	v_mov_b32_e32 v0, 1
	s_and_saveexec_b64 s[8:9], s[4:5]
	s_cbranch_execz .LBB1_160
; %bb.164:                              ;   in Loop: Header=BB1_163 Depth=2
	global_load_dword v0, v[10:11], off offset:20 glc
	s_waitcnt vmcnt(0)
	buffer_wbinvl1_vol
	v_and_b32_e32 v0, 1, v0
	s_branch .LBB1_160
.LBB1_165:                              ;   in Loop: Header=BB1_2 Depth=1
	s_and_saveexec_b64 s[8:9], s[4:5]
	s_cbranch_execz .LBB1_1
; %bb.166:                              ;   in Loop: Header=BB1_2 Depth=1
	global_load_dwordx2 v[2:3], v50, s[28:29] offset:40
	global_load_dwordx2 v[6:7], v50, s[28:29] offset:24 glc
	global_load_dwordx2 v[4:5], v50, s[28:29]
	v_mov_b32_e32 v1, s7
	s_waitcnt vmcnt(2)
	v_add_co_u32_e32 v8, vcc, 1, v2
	v_addc_co_u32_e32 v9, vcc, 0, v3, vcc
	v_add_co_u32_e32 v0, vcc, s6, v8
	v_addc_co_u32_e32 v1, vcc, v9, v1, vcc
	v_cmp_eq_u64_e32 vcc, 0, v[0:1]
	v_cndmask_b32_e32 v1, v1, v9, vcc
	v_cndmask_b32_e32 v0, v0, v8, vcc
	v_and_b32_e32 v3, v1, v3
	v_and_b32_e32 v2, v0, v2
	v_mul_lo_u32 v3, v3, 24
	v_mul_hi_u32 v8, v2, 24
	v_mul_lo_u32 v9, v2, 24
	s_waitcnt vmcnt(1)
	v_mov_b32_e32 v2, v6
	v_add_u32_e32 v3, v8, v3
	s_waitcnt vmcnt(0)
	v_add_co_u32_e32 v4, vcc, v4, v9
	v_addc_co_u32_e32 v5, vcc, v5, v3, vcc
	global_store_dwordx2 v[4:5], v[6:7], off
	v_mov_b32_e32 v3, v7
	s_waitcnt vmcnt(0)
	global_atomic_cmpswap_x2 v[2:3], v50, v[0:3], s[28:29] offset:24 glc
	s_waitcnt vmcnt(0)
	v_cmp_ne_u64_e32 vcc, v[2:3], v[6:7]
	s_and_b64 exec, exec, vcc
	s_cbranch_execz .LBB1_1
; %bb.167:                              ;   in Loop: Header=BB1_2 Depth=1
	s_mov_b64 s[4:5], 0
.LBB1_168:                              ;   Parent Loop BB1_2 Depth=1
                                        ; =>  This Inner Loop Header: Depth=2
	s_sleep 1
	global_store_dwordx2 v[4:5], v[2:3], off
	s_waitcnt vmcnt(0)
	global_atomic_cmpswap_x2 v[6:7], v50, v[0:3], s[28:29] offset:24 glc
	s_waitcnt vmcnt(0)
	v_cmp_eq_u64_e32 vcc, v[6:7], v[2:3]
	v_mov_b32_e32 v2, v6
	s_or_b64 s[4:5], vcc, s[4:5]
	v_mov_b32_e32 v3, v7
	s_andn2_b64 exec, exec, s[4:5]
	s_cbranch_execnz .LBB1_168
	s_branch .LBB1_1
.LBB1_169:
	s_getpc_b64 s[34:35]
	s_add_u32 s34, s34, .str.8@rel32@lo+4
	s_addc_u32 s35, s35, .str.8@rel32@hi+12
	s_mov_b64 s[8:9], s[24:25]
	v_mov_b32_e32 v0, s34
	v_mov_b32_e32 v1, s35
	s_getpc_b64 s[36:37]
	s_add_u32 s36, s36, _ZNK8migraphx13basic_printerIZNS_4coutEvEUlT_E_ElsEPKc@rel32@lo+4
	s_addc_u32 s37, s37, _ZNK8migraphx13basic_printerIZNS_4coutEvEUlT_E_ElsEPKc@rel32@hi+12
	s_swappc_b64 s[30:31], s[36:37]
	s_getpc_b64 s[4:5]
	s_add_u32 s4, s4, .str.10@rel32@lo+4
	s_addc_u32 s5, s5, .str.10@rel32@hi+12
	s_mov_b64 s[8:9], s[24:25]
	v_mov_b32_e32 v0, s4
	v_mov_b32_e32 v1, s5
	s_swappc_b64 s[30:31], s[36:37]
	s_mov_b64 s[8:9], s[24:25]
	v_mov_b32_e32 v0, s34
	v_mov_b32_e32 v1, s35
	s_swappc_b64 s[30:31], s[36:37]
	flat_load_dwordx2 v[52:53], v[36:37] offset:8
	s_mov_b32 s35, 0
	v_mov_b32_e32 v38, 0
	s_mov_b32 s36, s35
	s_mov_b32 s37, s35
	s_mov_b32 s38, s35
	s_mov_b32 s39, s35
	s_movk_i32 s23, 0xff1f
	s_movk_i32 s40, 0xff1d
	v_mov_b32_e32 v50, 2
	v_mov_b32_e32 v51, 1
	;; [unrolled: 1-line block ×3, first 2 shown]
	s_mov_b32 s34, s35
	s_branch .LBB1_171
.LBB1_170:                              ;   in Loop: Header=BB1_171 Depth=1
	s_or_b64 exec, exec, s[8:9]
	s_add_i32 s34, s34, 1
	s_cmp_lg_u32 s34, 6
	s_cbranch_scc0 .LBB1_338
.LBB1_171:                              ; =>This Loop Header: Depth=1
                                        ;     Child Loop BB1_176 Depth 2
                                        ;     Child Loop BB1_184 Depth 2
	;; [unrolled: 1-line block ×9, first 2 shown]
                                        ;       Child Loop BB1_205 Depth 3
                                        ;       Child Loop BB1_212 Depth 3
                                        ;       Child Loop BB1_220 Depth 3
                                        ;       Child Loop BB1_228 Depth 3
                                        ;       Child Loop BB1_236 Depth 3
                                        ;       Child Loop BB1_244 Depth 3
                                        ;       Child Loop BB1_252 Depth 3
                                        ;       Child Loop BB1_260 Depth 3
                                        ;       Child Loop BB1_268 Depth 3
                                        ;       Child Loop BB1_277 Depth 3
                                        ;       Child Loop BB1_282 Depth 3
                                        ;     Child Loop BB1_315 Depth 2
                                        ;     Child Loop BB1_323 Depth 2
	;; [unrolled: 1-line block ×4, first 2 shown]
	s_cmp_eq_u32 s34, 0
	s_cbranch_scc1 .LBB1_173
; %bb.172:                              ;   in Loop: Header=BB1_171 Depth=1
	s_getpc_b64 s[4:5]
	s_add_u32 s4, s4, .str.11@rel32@lo+4
	s_addc_u32 s5, s5, .str.11@rel32@hi+12
	s_mov_b64 s[8:9], s[24:25]
	v_mov_b32_e32 v0, s4
	v_mov_b32_e32 v1, s5
	s_getpc_b64 s[6:7]
	s_add_u32 s6, s6, _ZNK8migraphx13basic_printerIZNS_4coutEvEUlT_E_ElsEPKc@rel32@lo+4
	s_addc_u32 s7, s7, _ZNK8migraphx13basic_printerIZNS_4coutEvEUlT_E_ElsEPKc@rel32@hi+12
	s_swappc_b64 s[30:31], s[6:7]
.LBB1_173:                              ;   in Loop: Header=BB1_171 Depth=1
	s_lshl_b64 s[4:5], s[34:35], 2
	v_mov_b32_e32 v1, s5
	s_waitcnt vmcnt(0) lgkmcnt(0)
	v_add_co_u32_e32 v0, vcc, s4, v52
	v_addc_co_u32_e32 v1, vcc, v53, v1, vcc
	flat_load_dword v24, v[0:1]
	v_readfirstlane_b32 s4, v55
	v_mov_b32_e32 v4, 0
	v_mov_b32_e32 v5, 0
	v_cmp_eq_u32_e64 s[4:5], s4, v55
	s_and_saveexec_b64 s[6:7], s[4:5]
	s_cbranch_execz .LBB1_179
; %bb.174:                              ;   in Loop: Header=BB1_171 Depth=1
	global_load_dwordx2 v[2:3], v38, s[28:29] offset:24 glc
	s_waitcnt vmcnt(0)
	buffer_wbinvl1_vol
	global_load_dwordx2 v[0:1], v38, s[28:29] offset:40
	global_load_dwordx2 v[4:5], v38, s[28:29]
	s_waitcnt vmcnt(0)
	v_and_b32_e32 v0, v0, v2
	v_and_b32_e32 v1, v1, v3
	v_mul_lo_u32 v1, v1, 24
	v_mul_hi_u32 v6, v0, 24
	v_mul_lo_u32 v0, v0, 24
	v_add_u32_e32 v1, v6, v1
	v_add_co_u32_e32 v0, vcc, v4, v0
	v_addc_co_u32_e32 v1, vcc, v5, v1, vcc
	global_load_dwordx2 v[0:1], v[0:1], off glc
	s_waitcnt vmcnt(0)
	global_atomic_cmpswap_x2 v[4:5], v38, v[0:3], s[28:29] offset:24 glc
	s_waitcnt vmcnt(0)
	buffer_wbinvl1_vol
	v_cmp_ne_u64_e32 vcc, v[4:5], v[2:3]
	s_and_saveexec_b64 s[8:9], vcc
	s_cbranch_execz .LBB1_178
; %bb.175:                              ;   in Loop: Header=BB1_171 Depth=1
	s_mov_b64 s[10:11], 0
.LBB1_176:                              ;   Parent Loop BB1_171 Depth=1
                                        ; =>  This Inner Loop Header: Depth=2
	s_sleep 1
	global_load_dwordx2 v[0:1], v38, s[28:29] offset:40
	global_load_dwordx2 v[6:7], v38, s[28:29]
	v_mov_b32_e32 v2, v4
	v_mov_b32_e32 v3, v5
	s_waitcnt vmcnt(0)
	v_and_b32_e32 v0, v0, v2
	v_mad_u64_u32 v[4:5], s[12:13], v0, 24, v[6:7]
	v_and_b32_e32 v1, v1, v3
	v_mov_b32_e32 v0, v5
	v_mad_u64_u32 v[0:1], s[12:13], v1, 24, v[0:1]
	v_mov_b32_e32 v5, v0
	global_load_dwordx2 v[0:1], v[4:5], off glc
	s_waitcnt vmcnt(0)
	global_atomic_cmpswap_x2 v[4:5], v38, v[0:3], s[28:29] offset:24 glc
	s_waitcnt vmcnt(0)
	buffer_wbinvl1_vol
	v_cmp_eq_u64_e32 vcc, v[4:5], v[2:3]
	s_or_b64 s[10:11], vcc, s[10:11]
	s_andn2_b64 exec, exec, s[10:11]
	s_cbranch_execnz .LBB1_176
; %bb.177:                              ;   in Loop: Header=BB1_171 Depth=1
	s_or_b64 exec, exec, s[10:11]
.LBB1_178:                              ;   in Loop: Header=BB1_171 Depth=1
	s_or_b64 exec, exec, s[8:9]
.LBB1_179:                              ;   in Loop: Header=BB1_171 Depth=1
	s_or_b64 exec, exec, s[6:7]
	global_load_dwordx2 v[6:7], v38, s[28:29] offset:40
	global_load_dwordx4 v[0:3], v38, s[28:29]
	v_readfirstlane_b32 s6, v4
	v_readfirstlane_b32 s7, v5
	s_mov_b64 s[8:9], exec
	s_waitcnt vmcnt(0)
	v_readfirstlane_b32 s10, v6
	v_readfirstlane_b32 s11, v7
	s_and_b64 s[10:11], s[6:7], s[10:11]
	s_mul_i32 s12, s11, 24
	s_mul_hi_u32 s13, s10, 24
	s_mul_i32 s14, s10, 24
	s_add_i32 s12, s13, s12
	v_mov_b32_e32 v5, s12
	v_add_co_u32_e32 v4, vcc, s14, v0
	v_addc_co_u32_e32 v5, vcc, v1, v5, vcc
	s_and_saveexec_b64 s[12:13], s[4:5]
	s_cbranch_execz .LBB1_181
; %bb.180:                              ;   in Loop: Header=BB1_171 Depth=1
	v_mov_b32_e32 v49, s9
	v_mov_b32_e32 v48, s8
	global_store_dwordx4 v[4:5], v[48:51], off offset:8
.LBB1_181:                              ;   in Loop: Header=BB1_171 Depth=1
	s_or_b64 exec, exec, s[12:13]
	s_lshl_b64 s[8:9], s[10:11], 12
	v_mov_b32_e32 v6, s9
	v_add_co_u32_e32 v8, vcc, s8, v2
	v_addc_co_u32_e32 v9, vcc, v3, v6, vcc
	v_mov_b32_e32 v10, s36
	v_mov_b32_e32 v37, v38
	;; [unrolled: 1-line block ×3, first 2 shown]
	v_readfirstlane_b32 s8, v8
	v_readfirstlane_b32 s9, v9
	v_mov_b32_e32 v11, s37
	v_mov_b32_e32 v12, s38
	;; [unrolled: 1-line block ×3, first 2 shown]
	s_nop 1
	global_store_dwordx4 v40, v[36:39], s[8:9]
	global_store_dwordx4 v40, v[10:13], s[8:9] offset:16
	global_store_dwordx4 v40, v[10:13], s[8:9] offset:32
	;; [unrolled: 1-line block ×3, first 2 shown]
	s_and_saveexec_b64 s[8:9], s[4:5]
	s_cbranch_execz .LBB1_189
; %bb.182:                              ;   in Loop: Header=BB1_171 Depth=1
	global_load_dwordx2 v[12:13], v38, s[28:29] offset:32 glc
	global_load_dwordx2 v[2:3], v38, s[28:29] offset:40
	v_mov_b32_e32 v10, s6
	v_mov_b32_e32 v11, s7
	s_waitcnt vmcnt(0)
	v_readfirstlane_b32 s10, v2
	v_readfirstlane_b32 s11, v3
	s_and_b64 s[10:11], s[10:11], s[6:7]
	s_mul_i32 s11, s11, 24
	s_mul_hi_u32 s12, s10, 24
	s_mul_i32 s10, s10, 24
	s_add_i32 s11, s12, s11
	v_mov_b32_e32 v2, s11
	v_add_co_u32_e32 v6, vcc, s10, v0
	v_addc_co_u32_e32 v7, vcc, v1, v2, vcc
	global_store_dwordx2 v[6:7], v[12:13], off
	s_waitcnt vmcnt(0)
	global_atomic_cmpswap_x2 v[2:3], v38, v[10:13], s[28:29] offset:32 glc
	s_waitcnt vmcnt(0)
	v_cmp_ne_u64_e32 vcc, v[2:3], v[12:13]
	s_and_saveexec_b64 s[10:11], vcc
	s_cbranch_execz .LBB1_185
; %bb.183:                              ;   in Loop: Header=BB1_171 Depth=1
	s_mov_b64 s[12:13], 0
.LBB1_184:                              ;   Parent Loop BB1_171 Depth=1
                                        ; =>  This Inner Loop Header: Depth=2
	s_sleep 1
	global_store_dwordx2 v[6:7], v[2:3], off
	v_mov_b32_e32 v0, s6
	v_mov_b32_e32 v1, s7
	s_waitcnt vmcnt(0)
	global_atomic_cmpswap_x2 v[0:1], v38, v[0:3], s[28:29] offset:32 glc
	s_waitcnt vmcnt(0)
	v_cmp_eq_u64_e32 vcc, v[0:1], v[2:3]
	v_mov_b32_e32 v3, v1
	s_or_b64 s[12:13], vcc, s[12:13]
	v_mov_b32_e32 v2, v0
	s_andn2_b64 exec, exec, s[12:13]
	s_cbranch_execnz .LBB1_184
.LBB1_185:                              ;   in Loop: Header=BB1_171 Depth=1
	s_or_b64 exec, exec, s[10:11]
	global_load_dwordx2 v[0:1], v38, s[28:29] offset:16
	s_mov_b64 s[12:13], exec
	v_mbcnt_lo_u32_b32 v2, s12, 0
	v_mbcnt_hi_u32_b32 v2, s13, v2
	v_cmp_eq_u32_e32 vcc, 0, v2
	s_and_saveexec_b64 s[10:11], vcc
	s_cbranch_execz .LBB1_187
; %bb.186:                              ;   in Loop: Header=BB1_171 Depth=1
	s_bcnt1_i32_b64 s12, s[12:13]
	v_mov_b32_e32 v37, s12
	s_waitcnt vmcnt(0)
	global_atomic_add_x2 v[0:1], v[37:38], off offset:8
.LBB1_187:                              ;   in Loop: Header=BB1_171 Depth=1
	s_or_b64 exec, exec, s[10:11]
	s_waitcnt vmcnt(0)
	global_load_dwordx2 v[2:3], v[0:1], off offset:16
	s_waitcnt vmcnt(0)
	v_cmp_eq_u64_e32 vcc, 0, v[2:3]
	s_cbranch_vccnz .LBB1_189
; %bb.188:                              ;   in Loop: Header=BB1_171 Depth=1
	global_load_dword v37, v[0:1], off offset:24
	s_waitcnt vmcnt(0)
	v_and_b32_e32 v0, 0xffffff, v37
	v_readfirstlane_b32 m0, v0
	global_store_dwordx2 v[2:3], v[37:38], off
	s_sendmsg sendmsg(MSG_INTERRUPT)
.LBB1_189:                              ;   in Loop: Header=BB1_171 Depth=1
	s_or_b64 exec, exec, s[8:9]
	v_add_co_u32_e32 v0, vcc, v8, v40
	v_addc_co_u32_e32 v1, vcc, 0, v9, vcc
	s_branch .LBB1_193
.LBB1_190:                              ;   in Loop: Header=BB1_193 Depth=2
	s_or_b64 exec, exec, s[8:9]
	v_readfirstlane_b32 s8, v2
	s_cmp_eq_u32 s8, 0
	s_cbranch_scc1 .LBB1_192
; %bb.191:                              ;   in Loop: Header=BB1_193 Depth=2
	s_sleep 1
	s_cbranch_execnz .LBB1_193
	s_branch .LBB1_195
.LBB1_192:                              ;   in Loop: Header=BB1_171 Depth=1
	s_branch .LBB1_195
.LBB1_193:                              ;   Parent Loop BB1_171 Depth=1
                                        ; =>  This Inner Loop Header: Depth=2
	v_mov_b32_e32 v2, 1
	s_and_saveexec_b64 s[8:9], s[4:5]
	s_cbranch_execz .LBB1_190
; %bb.194:                              ;   in Loop: Header=BB1_193 Depth=2
	global_load_dword v2, v[4:5], off offset:20 glc
	s_waitcnt vmcnt(0)
	buffer_wbinvl1_vol
	v_and_b32_e32 v2, 1, v2
	s_branch .LBB1_190
.LBB1_195:                              ;   in Loop: Header=BB1_171 Depth=1
	global_load_dwordx2 v[0:1], v[0:1], off
	s_and_saveexec_b64 s[8:9], s[4:5]
	s_cbranch_execz .LBB1_199
; %bb.196:                              ;   in Loop: Header=BB1_171 Depth=1
	global_load_dwordx2 v[4:5], v38, s[28:29] offset:40
	global_load_dwordx2 v[8:9], v38, s[28:29] offset:24 glc
	global_load_dwordx2 v[6:7], v38, s[28:29]
	v_mov_b32_e32 v3, s7
	s_waitcnt vmcnt(0)
	v_add_co_u32_e32 v10, vcc, 1, v4
	v_addc_co_u32_e32 v11, vcc, 0, v5, vcc
	v_add_co_u32_e32 v2, vcc, s6, v10
	v_addc_co_u32_e32 v3, vcc, v11, v3, vcc
	v_cmp_eq_u64_e32 vcc, 0, v[2:3]
	v_cndmask_b32_e32 v3, v3, v11, vcc
	v_cndmask_b32_e32 v2, v2, v10, vcc
	v_and_b32_e32 v5, v3, v5
	v_and_b32_e32 v4, v2, v4
	v_mul_lo_u32 v5, v5, 24
	v_mul_hi_u32 v10, v4, 24
	v_mul_lo_u32 v11, v4, 24
	v_mov_b32_e32 v4, v8
	v_add_u32_e32 v5, v10, v5
	v_add_co_u32_e32 v6, vcc, v6, v11
	v_addc_co_u32_e32 v7, vcc, v7, v5, vcc
	global_store_dwordx2 v[6:7], v[8:9], off
	v_mov_b32_e32 v5, v9
	s_waitcnt vmcnt(0)
	global_atomic_cmpswap_x2 v[4:5], v38, v[2:5], s[28:29] offset:24 glc
	s_waitcnt vmcnt(0)
	v_cmp_ne_u64_e32 vcc, v[4:5], v[8:9]
	s_and_b64 exec, exec, vcc
	s_cbranch_execz .LBB1_199
; %bb.197:                              ;   in Loop: Header=BB1_171 Depth=1
	s_mov_b64 s[4:5], 0
.LBB1_198:                              ;   Parent Loop BB1_171 Depth=1
                                        ; =>  This Inner Loop Header: Depth=2
	s_sleep 1
	global_store_dwordx2 v[6:7], v[4:5], off
	s_waitcnt vmcnt(0)
	global_atomic_cmpswap_x2 v[8:9], v38, v[2:5], s[28:29] offset:24 glc
	s_waitcnt vmcnt(0)
	v_cmp_eq_u64_e32 vcc, v[8:9], v[4:5]
	v_mov_b32_e32 v4, v8
	s_or_b64 s[4:5], vcc, s[4:5]
	v_mov_b32_e32 v5, v9
	s_andn2_b64 exec, exec, s[4:5]
	s_cbranch_execnz .LBB1_198
.LBB1_199:                              ;   in Loop: Header=BB1_171 Depth=1
	s_or_b64 exec, exec, s[8:9]
	s_and_b64 vcc, exec, s[26:27]
	s_cbranch_vccz .LBB1_284
; %bb.200:                              ;   in Loop: Header=BB1_171 Depth=1
	s_waitcnt vmcnt(0)
	v_and_b32_e32 v25, 2, v0
	v_and_b32_e32 v2, -3, v0
	v_mov_b32_e32 v3, v1
	s_mov_b64 s[8:9], 4
	s_getpc_b64 s[6:7]
	s_add_u32 s6, s6, .str.7@rel32@lo+4
	s_addc_u32 s7, s7, .str.7@rel32@hi+12
	s_branch .LBB1_202
.LBB1_201:                              ;   in Loop: Header=BB1_202 Depth=2
	s_or_b64 exec, exec, s[14:15]
	s_sub_u32 s8, s8, s10
	s_subb_u32 s9, s9, s11
	s_add_u32 s6, s6, s10
	s_addc_u32 s7, s7, s11
	s_cmp_lg_u64 s[8:9], 0
	s_cbranch_scc0 .LBB1_283
.LBB1_202:                              ;   Parent Loop BB1_171 Depth=1
                                        ; =>  This Loop Header: Depth=2
                                        ;       Child Loop BB1_205 Depth 3
                                        ;       Child Loop BB1_212 Depth 3
	;; [unrolled: 1-line block ×11, first 2 shown]
	v_cmp_lt_u64_e64 s[4:5], s[8:9], 56
	v_cmp_gt_u64_e64 s[12:13], s[8:9], 7
	s_and_b64 s[4:5], s[4:5], exec
	s_cselect_b32 s11, s9, 0
	s_cselect_b32 s10, s8, 56
	s_and_b64 vcc, exec, s[12:13]
	s_cbranch_vccnz .LBB1_207
; %bb.203:                              ;   in Loop: Header=BB1_202 Depth=2
	s_waitcnt vmcnt(0)
	v_mov_b32_e32 v4, 0
	s_cmp_eq_u64 s[8:9], 0
	v_mov_b32_e32 v5, 0
	s_mov_b64 s[4:5], 0
	s_cbranch_scc1 .LBB1_206
; %bb.204:                              ;   in Loop: Header=BB1_202 Depth=2
	v_mov_b32_e32 v4, 0
	s_lshl_b64 s[12:13], s[10:11], 3
	s_mov_b64 s[14:15], 0
	v_mov_b32_e32 v5, 0
	s_mov_b64 s[16:17], s[6:7]
.LBB1_205:                              ;   Parent Loop BB1_171 Depth=1
                                        ;     Parent Loop BB1_202 Depth=2
                                        ; =>    This Inner Loop Header: Depth=3
	global_load_ubyte v6, v38, s[16:17]
	s_waitcnt vmcnt(0)
	v_and_b32_e32 v37, 0xffff, v6
	v_lshlrev_b64 v[6:7], s14, v[37:38]
	s_add_u32 s14, s14, 8
	s_addc_u32 s15, s15, 0
	s_add_u32 s16, s16, 1
	s_addc_u32 s17, s17, 0
	v_or_b32_e32 v4, v6, v4
	s_cmp_lg_u32 s12, s14
	v_or_b32_e32 v5, v7, v5
	s_cbranch_scc1 .LBB1_205
.LBB1_206:                              ;   in Loop: Header=BB1_202 Depth=2
	s_mov_b32 s16, 0
	s_andn2_b64 vcc, exec, s[4:5]
	s_mov_b64 s[4:5], s[6:7]
	s_cbranch_vccz .LBB1_208
	s_branch .LBB1_209
.LBB1_207:                              ;   in Loop: Header=BB1_202 Depth=2
                                        ; implicit-def: $vgpr4_vgpr5
                                        ; implicit-def: $sgpr16
	s_mov_b64 s[4:5], s[6:7]
.LBB1_208:                              ;   in Loop: Header=BB1_202 Depth=2
	global_load_dwordx2 v[4:5], v38, s[6:7]
	s_add_i32 s16, s10, -8
	s_add_u32 s4, s6, 8
	s_addc_u32 s5, s7, 0
.LBB1_209:                              ;   in Loop: Header=BB1_202 Depth=2
	s_cmp_gt_u32 s16, 7
	s_cbranch_scc1 .LBB1_213
; %bb.210:                              ;   in Loop: Header=BB1_202 Depth=2
	s_cmp_eq_u32 s16, 0
	s_cbranch_scc1 .LBB1_214
; %bb.211:                              ;   in Loop: Header=BB1_202 Depth=2
	v_mov_b32_e32 v6, 0
	s_mov_b64 s[12:13], 0
	v_mov_b32_e32 v7, 0
	s_mov_b64 s[14:15], 0
.LBB1_212:                              ;   Parent Loop BB1_171 Depth=1
                                        ;     Parent Loop BB1_202 Depth=2
                                        ; =>    This Inner Loop Header: Depth=3
	s_add_u32 s18, s4, s14
	s_addc_u32 s19, s5, s15
	global_load_ubyte v8, v38, s[18:19]
	s_add_u32 s14, s14, 1
	s_addc_u32 s15, s15, 0
	s_waitcnt vmcnt(0)
	v_and_b32_e32 v37, 0xffff, v8
	v_lshlrev_b64 v[8:9], s12, v[37:38]
	s_add_u32 s12, s12, 8
	s_addc_u32 s13, s13, 0
	v_or_b32_e32 v6, v8, v6
	s_cmp_lg_u32 s16, s14
	v_or_b32_e32 v7, v9, v7
	s_cbranch_scc1 .LBB1_212
	s_branch .LBB1_215
.LBB1_213:                              ;   in Loop: Header=BB1_202 Depth=2
                                        ; implicit-def: $vgpr6_vgpr7
                                        ; implicit-def: $sgpr17
	s_branch .LBB1_216
.LBB1_214:                              ;   in Loop: Header=BB1_202 Depth=2
	v_mov_b32_e32 v6, 0
	v_mov_b32_e32 v7, 0
.LBB1_215:                              ;   in Loop: Header=BB1_202 Depth=2
	s_mov_b32 s17, 0
	s_cbranch_execnz .LBB1_217
.LBB1_216:                              ;   in Loop: Header=BB1_202 Depth=2
	global_load_dwordx2 v[6:7], v38, s[4:5]
	s_add_i32 s17, s16, -8
	s_add_u32 s4, s4, 8
	s_addc_u32 s5, s5, 0
.LBB1_217:                              ;   in Loop: Header=BB1_202 Depth=2
	s_cmp_gt_u32 s17, 7
	s_cbranch_scc1 .LBB1_221
; %bb.218:                              ;   in Loop: Header=BB1_202 Depth=2
	s_cmp_eq_u32 s17, 0
	s_cbranch_scc1 .LBB1_222
; %bb.219:                              ;   in Loop: Header=BB1_202 Depth=2
	v_mov_b32_e32 v8, 0
	s_mov_b64 s[12:13], 0
	v_mov_b32_e32 v9, 0
	s_mov_b64 s[14:15], 0
.LBB1_220:                              ;   Parent Loop BB1_171 Depth=1
                                        ;     Parent Loop BB1_202 Depth=2
                                        ; =>    This Inner Loop Header: Depth=3
	s_add_u32 s18, s4, s14
	s_addc_u32 s19, s5, s15
	global_load_ubyte v10, v38, s[18:19]
	s_add_u32 s14, s14, 1
	s_addc_u32 s15, s15, 0
	s_waitcnt vmcnt(0)
	v_and_b32_e32 v37, 0xffff, v10
	v_lshlrev_b64 v[10:11], s12, v[37:38]
	s_add_u32 s12, s12, 8
	s_addc_u32 s13, s13, 0
	v_or_b32_e32 v8, v10, v8
	s_cmp_lg_u32 s17, s14
	v_or_b32_e32 v9, v11, v9
	s_cbranch_scc1 .LBB1_220
	s_branch .LBB1_223
.LBB1_221:                              ;   in Loop: Header=BB1_202 Depth=2
                                        ; implicit-def: $sgpr16
	s_branch .LBB1_224
.LBB1_222:                              ;   in Loop: Header=BB1_202 Depth=2
	v_mov_b32_e32 v8, 0
	v_mov_b32_e32 v9, 0
.LBB1_223:                              ;   in Loop: Header=BB1_202 Depth=2
	s_mov_b32 s16, 0
	s_cbranch_execnz .LBB1_225
.LBB1_224:                              ;   in Loop: Header=BB1_202 Depth=2
	global_load_dwordx2 v[8:9], v38, s[4:5]
	s_add_i32 s16, s17, -8
	s_add_u32 s4, s4, 8
	s_addc_u32 s5, s5, 0
.LBB1_225:                              ;   in Loop: Header=BB1_202 Depth=2
	s_cmp_gt_u32 s16, 7
	s_cbranch_scc1 .LBB1_229
; %bb.226:                              ;   in Loop: Header=BB1_202 Depth=2
	s_cmp_eq_u32 s16, 0
	s_cbranch_scc1 .LBB1_230
; %bb.227:                              ;   in Loop: Header=BB1_202 Depth=2
	v_mov_b32_e32 v10, 0
	s_mov_b64 s[12:13], 0
	v_mov_b32_e32 v11, 0
	s_mov_b64 s[14:15], 0
.LBB1_228:                              ;   Parent Loop BB1_171 Depth=1
                                        ;     Parent Loop BB1_202 Depth=2
                                        ; =>    This Inner Loop Header: Depth=3
	s_add_u32 s18, s4, s14
	s_addc_u32 s19, s5, s15
	global_load_ubyte v12, v38, s[18:19]
	s_add_u32 s14, s14, 1
	s_addc_u32 s15, s15, 0
	s_waitcnt vmcnt(0)
	v_and_b32_e32 v37, 0xffff, v12
	v_lshlrev_b64 v[12:13], s12, v[37:38]
	s_add_u32 s12, s12, 8
	s_addc_u32 s13, s13, 0
	v_or_b32_e32 v10, v12, v10
	s_cmp_lg_u32 s16, s14
	v_or_b32_e32 v11, v13, v11
	s_cbranch_scc1 .LBB1_228
	s_branch .LBB1_231
.LBB1_229:                              ;   in Loop: Header=BB1_202 Depth=2
                                        ; implicit-def: $vgpr10_vgpr11
                                        ; implicit-def: $sgpr17
	s_branch .LBB1_232
.LBB1_230:                              ;   in Loop: Header=BB1_202 Depth=2
	v_mov_b32_e32 v10, 0
	v_mov_b32_e32 v11, 0
.LBB1_231:                              ;   in Loop: Header=BB1_202 Depth=2
	s_mov_b32 s17, 0
	s_cbranch_execnz .LBB1_233
.LBB1_232:                              ;   in Loop: Header=BB1_202 Depth=2
	global_load_dwordx2 v[10:11], v38, s[4:5]
	s_add_i32 s17, s16, -8
	s_add_u32 s4, s4, 8
	s_addc_u32 s5, s5, 0
.LBB1_233:                              ;   in Loop: Header=BB1_202 Depth=2
	s_cmp_gt_u32 s17, 7
	s_cbranch_scc1 .LBB1_237
; %bb.234:                              ;   in Loop: Header=BB1_202 Depth=2
	s_cmp_eq_u32 s17, 0
	s_cbranch_scc1 .LBB1_238
; %bb.235:                              ;   in Loop: Header=BB1_202 Depth=2
	v_mov_b32_e32 v12, 0
	s_mov_b64 s[12:13], 0
	v_mov_b32_e32 v13, 0
	s_mov_b64 s[14:15], 0
.LBB1_236:                              ;   Parent Loop BB1_171 Depth=1
                                        ;     Parent Loop BB1_202 Depth=2
                                        ; =>    This Inner Loop Header: Depth=3
	s_add_u32 s18, s4, s14
	s_addc_u32 s19, s5, s15
	global_load_ubyte v14, v38, s[18:19]
	s_add_u32 s14, s14, 1
	s_addc_u32 s15, s15, 0
	s_waitcnt vmcnt(0)
	v_and_b32_e32 v37, 0xffff, v14
	v_lshlrev_b64 v[14:15], s12, v[37:38]
	s_add_u32 s12, s12, 8
	s_addc_u32 s13, s13, 0
	v_or_b32_e32 v12, v14, v12
	s_cmp_lg_u32 s17, s14
	v_or_b32_e32 v13, v15, v13
	s_cbranch_scc1 .LBB1_236
	s_branch .LBB1_239
.LBB1_237:                              ;   in Loop: Header=BB1_202 Depth=2
                                        ; implicit-def: $sgpr16
	s_branch .LBB1_240
.LBB1_238:                              ;   in Loop: Header=BB1_202 Depth=2
	v_mov_b32_e32 v12, 0
	v_mov_b32_e32 v13, 0
.LBB1_239:                              ;   in Loop: Header=BB1_202 Depth=2
	s_mov_b32 s16, 0
	s_cbranch_execnz .LBB1_241
.LBB1_240:                              ;   in Loop: Header=BB1_202 Depth=2
	global_load_dwordx2 v[12:13], v38, s[4:5]
	s_add_i32 s16, s17, -8
	s_add_u32 s4, s4, 8
	s_addc_u32 s5, s5, 0
.LBB1_241:                              ;   in Loop: Header=BB1_202 Depth=2
	s_cmp_gt_u32 s16, 7
	s_cbranch_scc1 .LBB1_245
; %bb.242:                              ;   in Loop: Header=BB1_202 Depth=2
	s_cmp_eq_u32 s16, 0
	s_cbranch_scc1 .LBB1_246
; %bb.243:                              ;   in Loop: Header=BB1_202 Depth=2
	v_mov_b32_e32 v14, 0
	s_mov_b64 s[12:13], 0
	v_mov_b32_e32 v15, 0
	s_mov_b64 s[14:15], 0
.LBB1_244:                              ;   Parent Loop BB1_171 Depth=1
                                        ;     Parent Loop BB1_202 Depth=2
                                        ; =>    This Inner Loop Header: Depth=3
	s_add_u32 s18, s4, s14
	s_addc_u32 s19, s5, s15
	global_load_ubyte v16, v38, s[18:19]
	s_add_u32 s14, s14, 1
	s_addc_u32 s15, s15, 0
	s_waitcnt vmcnt(0)
	v_and_b32_e32 v37, 0xffff, v16
	v_lshlrev_b64 v[16:17], s12, v[37:38]
	s_add_u32 s12, s12, 8
	s_addc_u32 s13, s13, 0
	v_or_b32_e32 v14, v16, v14
	s_cmp_lg_u32 s16, s14
	v_or_b32_e32 v15, v17, v15
	s_cbranch_scc1 .LBB1_244
	s_branch .LBB1_247
.LBB1_245:                              ;   in Loop: Header=BB1_202 Depth=2
                                        ; implicit-def: $vgpr14_vgpr15
                                        ; implicit-def: $sgpr17
	s_branch .LBB1_248
.LBB1_246:                              ;   in Loop: Header=BB1_202 Depth=2
	v_mov_b32_e32 v14, 0
	v_mov_b32_e32 v15, 0
.LBB1_247:                              ;   in Loop: Header=BB1_202 Depth=2
	s_mov_b32 s17, 0
	s_cbranch_execnz .LBB1_249
.LBB1_248:                              ;   in Loop: Header=BB1_202 Depth=2
	global_load_dwordx2 v[14:15], v38, s[4:5]
	s_add_i32 s17, s16, -8
	s_add_u32 s4, s4, 8
	s_addc_u32 s5, s5, 0
.LBB1_249:                              ;   in Loop: Header=BB1_202 Depth=2
	s_cmp_gt_u32 s17, 7
	s_cbranch_scc1 .LBB1_253
; %bb.250:                              ;   in Loop: Header=BB1_202 Depth=2
	s_cmp_eq_u32 s17, 0
	s_cbranch_scc1 .LBB1_254
; %bb.251:                              ;   in Loop: Header=BB1_202 Depth=2
	v_mov_b32_e32 v16, 0
	s_mov_b64 s[12:13], 0
	v_mov_b32_e32 v17, 0
	s_mov_b64 s[14:15], s[4:5]
.LBB1_252:                              ;   Parent Loop BB1_171 Depth=1
                                        ;     Parent Loop BB1_202 Depth=2
                                        ; =>    This Inner Loop Header: Depth=3
	global_load_ubyte v18, v38, s[14:15]
	s_add_i32 s17, s17, -1
	s_waitcnt vmcnt(0)
	v_and_b32_e32 v37, 0xffff, v18
	v_lshlrev_b64 v[18:19], s12, v[37:38]
	s_add_u32 s12, s12, 8
	s_addc_u32 s13, s13, 0
	s_add_u32 s14, s14, 1
	s_addc_u32 s15, s15, 0
	v_or_b32_e32 v16, v18, v16
	s_cmp_lg_u32 s17, 0
	v_or_b32_e32 v17, v19, v17
	s_cbranch_scc1 .LBB1_252
	s_branch .LBB1_255
.LBB1_253:                              ;   in Loop: Header=BB1_202 Depth=2
	s_branch .LBB1_256
.LBB1_254:                              ;   in Loop: Header=BB1_202 Depth=2
	v_mov_b32_e32 v16, 0
	v_mov_b32_e32 v17, 0
.LBB1_255:                              ;   in Loop: Header=BB1_202 Depth=2
	s_cbranch_execnz .LBB1_257
.LBB1_256:                              ;   in Loop: Header=BB1_202 Depth=2
	global_load_dwordx2 v[16:17], v38, s[4:5]
.LBB1_257:                              ;   in Loop: Header=BB1_202 Depth=2
	v_readfirstlane_b32 s4, v55
	v_mov_b32_e32 v22, 0
	v_mov_b32_e32 v23, 0
	v_cmp_eq_u32_e64 s[4:5], s4, v55
	s_and_saveexec_b64 s[12:13], s[4:5]
	s_cbranch_execz .LBB1_263
; %bb.258:                              ;   in Loop: Header=BB1_202 Depth=2
	global_load_dwordx2 v[20:21], v38, s[28:29] offset:24 glc
	s_waitcnt vmcnt(0)
	buffer_wbinvl1_vol
	global_load_dwordx2 v[18:19], v38, s[28:29] offset:40
	global_load_dwordx2 v[22:23], v38, s[28:29]
	s_waitcnt vmcnt(0)
	v_and_b32_e32 v18, v18, v20
	v_and_b32_e32 v19, v19, v21
	v_mul_lo_u32 v19, v19, 24
	v_mul_hi_u32 v26, v18, 24
	v_mul_lo_u32 v18, v18, 24
	v_add_u32_e32 v19, v26, v19
	v_add_co_u32_e32 v18, vcc, v22, v18
	v_addc_co_u32_e32 v19, vcc, v23, v19, vcc
	global_load_dwordx2 v[18:19], v[18:19], off glc
	s_waitcnt vmcnt(0)
	global_atomic_cmpswap_x2 v[22:23], v38, v[18:21], s[28:29] offset:24 glc
	s_waitcnt vmcnt(0)
	buffer_wbinvl1_vol
	v_cmp_ne_u64_e32 vcc, v[22:23], v[20:21]
	s_and_saveexec_b64 s[14:15], vcc
	s_cbranch_execz .LBB1_262
; %bb.259:                              ;   in Loop: Header=BB1_202 Depth=2
	s_mov_b64 s[16:17], 0
.LBB1_260:                              ;   Parent Loop BB1_171 Depth=1
                                        ;     Parent Loop BB1_202 Depth=2
                                        ; =>    This Inner Loop Header: Depth=3
	s_sleep 1
	global_load_dwordx2 v[18:19], v38, s[28:29] offset:40
	global_load_dwordx2 v[26:27], v38, s[28:29]
	v_mov_b32_e32 v20, v22
	v_mov_b32_e32 v21, v23
	s_waitcnt vmcnt(0)
	v_and_b32_e32 v18, v18, v20
	v_mad_u64_u32 v[22:23], s[18:19], v18, 24, v[26:27]
	v_and_b32_e32 v19, v19, v21
	v_mov_b32_e32 v18, v23
	v_mad_u64_u32 v[18:19], s[18:19], v19, 24, v[18:19]
	v_mov_b32_e32 v23, v18
	global_load_dwordx2 v[18:19], v[22:23], off glc
	s_waitcnt vmcnt(0)
	global_atomic_cmpswap_x2 v[22:23], v38, v[18:21], s[28:29] offset:24 glc
	s_waitcnt vmcnt(0)
	buffer_wbinvl1_vol
	v_cmp_eq_u64_e32 vcc, v[22:23], v[20:21]
	s_or_b64 s[16:17], vcc, s[16:17]
	s_andn2_b64 exec, exec, s[16:17]
	s_cbranch_execnz .LBB1_260
; %bb.261:                              ;   in Loop: Header=BB1_202 Depth=2
	s_or_b64 exec, exec, s[16:17]
.LBB1_262:                              ;   in Loop: Header=BB1_202 Depth=2
	s_or_b64 exec, exec, s[14:15]
.LBB1_263:                              ;   in Loop: Header=BB1_202 Depth=2
	s_or_b64 exec, exec, s[12:13]
	global_load_dwordx2 v[26:27], v38, s[28:29] offset:40
	global_load_dwordx4 v[18:21], v38, s[28:29]
	v_readfirstlane_b32 s12, v22
	v_readfirstlane_b32 s13, v23
	s_mov_b64 s[14:15], exec
	s_waitcnt vmcnt(0)
	v_readfirstlane_b32 s16, v26
	v_readfirstlane_b32 s17, v27
	s_and_b64 s[16:17], s[12:13], s[16:17]
	s_mul_i32 s18, s17, 24
	s_mul_hi_u32 s19, s16, 24
	s_mul_i32 s20, s16, 24
	s_add_i32 s18, s19, s18
	v_mov_b32_e32 v23, s18
	v_add_co_u32_e32 v22, vcc, s20, v18
	v_addc_co_u32_e32 v23, vcc, v19, v23, vcc
	s_and_saveexec_b64 s[18:19], s[4:5]
	s_cbranch_execz .LBB1_265
; %bb.264:                              ;   in Loop: Header=BB1_202 Depth=2
	v_mov_b32_e32 v49, s15
	v_mov_b32_e32 v48, s14
	global_store_dwordx4 v[22:23], v[48:51], off offset:8
.LBB1_265:                              ;   in Loop: Header=BB1_202 Depth=2
	s_or_b64 exec, exec, s[18:19]
	s_lshl_b64 s[14:15], s[16:17], 12
	v_mov_b32_e32 v26, s15
	v_add_co_u32_e32 v20, vcc, s14, v20
	v_addc_co_u32_e32 v21, vcc, v21, v26, vcc
	v_cmp_gt_u64_e64 vcc, s[8:9], 56
	v_or_b32_e32 v27, v2, v25
	s_lshl_b32 s14, s10, 2
	v_cndmask_b32_e32 v2, v27, v2, vcc
	s_add_i32 s14, s14, 28
	v_or_b32_e32 v26, 0, v3
	s_and_b32 s14, s14, 0x1e0
	v_and_b32_e32 v2, 0xffffff1f, v2
	v_cndmask_b32_e32 v3, v26, v3, vcc
	v_or_b32_e32 v2, s14, v2
	v_readfirstlane_b32 s14, v20
	v_readfirstlane_b32 s15, v21
	s_nop 4
	global_store_dwordx4 v40, v[2:5], s[14:15]
	global_store_dwordx4 v40, v[6:9], s[14:15] offset:16
	global_store_dwordx4 v40, v[10:13], s[14:15] offset:32
	;; [unrolled: 1-line block ×3, first 2 shown]
	s_and_saveexec_b64 s[14:15], s[4:5]
	s_cbranch_execz .LBB1_273
; %bb.266:                              ;   in Loop: Header=BB1_202 Depth=2
	global_load_dwordx2 v[10:11], v38, s[28:29] offset:32 glc
	global_load_dwordx2 v[2:3], v38, s[28:29] offset:40
	v_mov_b32_e32 v8, s12
	v_mov_b32_e32 v9, s13
	s_waitcnt vmcnt(0)
	v_readfirstlane_b32 s16, v2
	v_readfirstlane_b32 s17, v3
	s_and_b64 s[16:17], s[16:17], s[12:13]
	s_mul_i32 s17, s17, 24
	s_mul_hi_u32 s18, s16, 24
	s_mul_i32 s16, s16, 24
	s_add_i32 s17, s18, s17
	v_mov_b32_e32 v2, s17
	v_add_co_u32_e32 v6, vcc, s16, v18
	v_addc_co_u32_e32 v7, vcc, v19, v2, vcc
	global_store_dwordx2 v[6:7], v[10:11], off
	s_waitcnt vmcnt(0)
	global_atomic_cmpswap_x2 v[4:5], v38, v[8:11], s[28:29] offset:32 glc
	s_waitcnt vmcnt(0)
	v_cmp_ne_u64_e32 vcc, v[4:5], v[10:11]
	s_and_saveexec_b64 s[16:17], vcc
	s_cbranch_execz .LBB1_269
; %bb.267:                              ;   in Loop: Header=BB1_202 Depth=2
	s_mov_b64 s[18:19], 0
.LBB1_268:                              ;   Parent Loop BB1_171 Depth=1
                                        ;     Parent Loop BB1_202 Depth=2
                                        ; =>    This Inner Loop Header: Depth=3
	s_sleep 1
	global_store_dwordx2 v[6:7], v[4:5], off
	v_mov_b32_e32 v2, s12
	v_mov_b32_e32 v3, s13
	s_waitcnt vmcnt(0)
	global_atomic_cmpswap_x2 v[2:3], v38, v[2:5], s[28:29] offset:32 glc
	s_waitcnt vmcnt(0)
	v_cmp_eq_u64_e32 vcc, v[2:3], v[4:5]
	v_mov_b32_e32 v5, v3
	s_or_b64 s[18:19], vcc, s[18:19]
	v_mov_b32_e32 v4, v2
	s_andn2_b64 exec, exec, s[18:19]
	s_cbranch_execnz .LBB1_268
.LBB1_269:                              ;   in Loop: Header=BB1_202 Depth=2
	s_or_b64 exec, exec, s[16:17]
	global_load_dwordx2 v[2:3], v38, s[28:29] offset:16
	s_mov_b64 s[18:19], exec
	v_mbcnt_lo_u32_b32 v4, s18, 0
	v_mbcnt_hi_u32_b32 v4, s19, v4
	v_cmp_eq_u32_e32 vcc, 0, v4
	s_and_saveexec_b64 s[16:17], vcc
	s_cbranch_execz .LBB1_271
; %bb.270:                              ;   in Loop: Header=BB1_202 Depth=2
	s_bcnt1_i32_b64 s18, s[18:19]
	v_mov_b32_e32 v37, s18
	s_waitcnt vmcnt(0)
	global_atomic_add_x2 v[2:3], v[37:38], off offset:8
.LBB1_271:                              ;   in Loop: Header=BB1_202 Depth=2
	s_or_b64 exec, exec, s[16:17]
	s_waitcnt vmcnt(0)
	global_load_dwordx2 v[4:5], v[2:3], off offset:16
	s_waitcnt vmcnt(0)
	v_cmp_eq_u64_e32 vcc, 0, v[4:5]
	s_cbranch_vccnz .LBB1_273
; %bb.272:                              ;   in Loop: Header=BB1_202 Depth=2
	global_load_dword v37, v[2:3], off offset:24
	s_waitcnt vmcnt(0)
	v_and_b32_e32 v2, 0xffffff, v37
	v_readfirstlane_b32 m0, v2
	global_store_dwordx2 v[4:5], v[37:38], off
	s_sendmsg sendmsg(MSG_INTERRUPT)
.LBB1_273:                              ;   in Loop: Header=BB1_202 Depth=2
	s_or_b64 exec, exec, s[14:15]
	v_add_co_u32_e32 v2, vcc, v20, v40
	v_addc_co_u32_e32 v3, vcc, 0, v21, vcc
	s_branch .LBB1_277
.LBB1_274:                              ;   in Loop: Header=BB1_277 Depth=3
	s_or_b64 exec, exec, s[14:15]
	v_readfirstlane_b32 s14, v4
	s_cmp_eq_u32 s14, 0
	s_cbranch_scc1 .LBB1_276
; %bb.275:                              ;   in Loop: Header=BB1_277 Depth=3
	s_sleep 1
	s_cbranch_execnz .LBB1_277
	s_branch .LBB1_279
.LBB1_276:                              ;   in Loop: Header=BB1_202 Depth=2
	s_branch .LBB1_279
.LBB1_277:                              ;   Parent Loop BB1_171 Depth=1
                                        ;     Parent Loop BB1_202 Depth=2
                                        ; =>    This Inner Loop Header: Depth=3
	v_mov_b32_e32 v4, 1
	s_and_saveexec_b64 s[14:15], s[4:5]
	s_cbranch_execz .LBB1_274
; %bb.278:                              ;   in Loop: Header=BB1_277 Depth=3
	global_load_dword v4, v[22:23], off offset:20 glc
	s_waitcnt vmcnt(0)
	buffer_wbinvl1_vol
	v_and_b32_e32 v4, 1, v4
	s_branch .LBB1_274
.LBB1_279:                              ;   in Loop: Header=BB1_202 Depth=2
	global_load_dwordx4 v[2:5], v[2:3], off
	s_and_saveexec_b64 s[14:15], s[4:5]
	s_cbranch_execz .LBB1_201
; %bb.280:                              ;   in Loop: Header=BB1_202 Depth=2
	global_load_dwordx2 v[6:7], v38, s[28:29] offset:40
	global_load_dwordx2 v[10:11], v38, s[28:29] offset:24 glc
	global_load_dwordx2 v[8:9], v38, s[28:29]
	s_waitcnt vmcnt(0)
	v_mov_b32_e32 v5, s13
	v_add_co_u32_e32 v12, vcc, 1, v6
	v_addc_co_u32_e32 v13, vcc, 0, v7, vcc
	v_add_co_u32_e32 v4, vcc, s12, v12
	v_addc_co_u32_e32 v5, vcc, v13, v5, vcc
	v_cmp_eq_u64_e32 vcc, 0, v[4:5]
	v_cndmask_b32_e32 v5, v5, v13, vcc
	v_cndmask_b32_e32 v4, v4, v12, vcc
	v_and_b32_e32 v7, v5, v7
	v_and_b32_e32 v6, v4, v6
	v_mul_lo_u32 v7, v7, 24
	v_mul_hi_u32 v12, v6, 24
	v_mul_lo_u32 v13, v6, 24
	v_mov_b32_e32 v6, v10
	v_add_u32_e32 v7, v12, v7
	v_add_co_u32_e32 v8, vcc, v8, v13
	v_addc_co_u32_e32 v9, vcc, v9, v7, vcc
	global_store_dwordx2 v[8:9], v[10:11], off
	v_mov_b32_e32 v7, v11
	s_waitcnt vmcnt(0)
	global_atomic_cmpswap_x2 v[6:7], v38, v[4:7], s[28:29] offset:24 glc
	s_waitcnt vmcnt(0)
	v_cmp_ne_u64_e32 vcc, v[6:7], v[10:11]
	s_and_b64 exec, exec, vcc
	s_cbranch_execz .LBB1_201
; %bb.281:                              ;   in Loop: Header=BB1_202 Depth=2
	s_mov_b64 s[4:5], 0
.LBB1_282:                              ;   Parent Loop BB1_171 Depth=1
                                        ;     Parent Loop BB1_202 Depth=2
                                        ; =>    This Inner Loop Header: Depth=3
	s_sleep 1
	global_store_dwordx2 v[8:9], v[6:7], off
	s_waitcnt vmcnt(0)
	global_atomic_cmpswap_x2 v[10:11], v38, v[4:7], s[28:29] offset:24 glc
	s_waitcnt vmcnt(0)
	v_cmp_eq_u64_e32 vcc, v[10:11], v[6:7]
	v_mov_b32_e32 v6, v10
	s_or_b64 s[4:5], vcc, s[4:5]
	v_mov_b32_e32 v7, v11
	s_andn2_b64 exec, exec, s[4:5]
	s_cbranch_execnz .LBB1_282
	s_branch .LBB1_201
.LBB1_283:                              ;   in Loop: Header=BB1_171 Depth=1
	s_branch .LBB1_312
.LBB1_284:                              ;   in Loop: Header=BB1_171 Depth=1
                                        ; implicit-def: $vgpr2_vgpr3
	s_cbranch_execz .LBB1_312
; %bb.285:                              ;   in Loop: Header=BB1_171 Depth=1
	v_readfirstlane_b32 s4, v55
	s_waitcnt vmcnt(0)
	v_mov_b32_e32 v2, 0
	v_mov_b32_e32 v3, 0
	v_cmp_eq_u32_e64 s[4:5], s4, v55
	s_and_saveexec_b64 s[6:7], s[4:5]
	s_cbranch_execz .LBB1_291
; %bb.286:                              ;   in Loop: Header=BB1_171 Depth=1
	global_load_dwordx2 v[4:5], v38, s[28:29] offset:24 glc
	s_waitcnt vmcnt(0)
	buffer_wbinvl1_vol
	global_load_dwordx2 v[2:3], v38, s[28:29] offset:40
	global_load_dwordx2 v[6:7], v38, s[28:29]
	s_waitcnt vmcnt(0)
	v_and_b32_e32 v2, v2, v4
	v_and_b32_e32 v3, v3, v5
	v_mul_lo_u32 v3, v3, 24
	v_mul_hi_u32 v8, v2, 24
	v_mul_lo_u32 v2, v2, 24
	v_add_u32_e32 v3, v8, v3
	v_add_co_u32_e32 v2, vcc, v6, v2
	v_addc_co_u32_e32 v3, vcc, v7, v3, vcc
	global_load_dwordx2 v[2:3], v[2:3], off glc
	s_waitcnt vmcnt(0)
	global_atomic_cmpswap_x2 v[2:3], v38, v[2:5], s[28:29] offset:24 glc
	s_waitcnt vmcnt(0)
	buffer_wbinvl1_vol
	v_cmp_ne_u64_e32 vcc, v[2:3], v[4:5]
	s_and_saveexec_b64 s[8:9], vcc
	s_cbranch_execz .LBB1_290
; %bb.287:                              ;   in Loop: Header=BB1_171 Depth=1
	s_mov_b64 s[10:11], 0
.LBB1_288:                              ;   Parent Loop BB1_171 Depth=1
                                        ; =>  This Inner Loop Header: Depth=2
	s_sleep 1
	global_load_dwordx2 v[6:7], v38, s[28:29] offset:40
	global_load_dwordx2 v[8:9], v38, s[28:29]
	v_mov_b32_e32 v5, v3
	v_mov_b32_e32 v4, v2
	s_waitcnt vmcnt(0)
	v_and_b32_e32 v2, v6, v4
	v_mad_u64_u32 v[2:3], s[12:13], v2, 24, v[8:9]
	v_and_b32_e32 v6, v7, v5
	v_mad_u64_u32 v[6:7], s[12:13], v6, 24, v[3:4]
	v_mov_b32_e32 v3, v6
	global_load_dwordx2 v[2:3], v[2:3], off glc
	s_waitcnt vmcnt(0)
	global_atomic_cmpswap_x2 v[2:3], v38, v[2:5], s[28:29] offset:24 glc
	s_waitcnt vmcnt(0)
	buffer_wbinvl1_vol
	v_cmp_eq_u64_e32 vcc, v[2:3], v[4:5]
	s_or_b64 s[10:11], vcc, s[10:11]
	s_andn2_b64 exec, exec, s[10:11]
	s_cbranch_execnz .LBB1_288
; %bb.289:                              ;   in Loop: Header=BB1_171 Depth=1
	s_or_b64 exec, exec, s[10:11]
.LBB1_290:                              ;   in Loop: Header=BB1_171 Depth=1
	s_or_b64 exec, exec, s[8:9]
.LBB1_291:                              ;   in Loop: Header=BB1_171 Depth=1
	s_or_b64 exec, exec, s[6:7]
	global_load_dwordx2 v[8:9], v38, s[28:29] offset:40
	global_load_dwordx4 v[4:7], v38, s[28:29]
	v_readfirstlane_b32 s6, v2
	v_readfirstlane_b32 s7, v3
	s_mov_b64 s[8:9], exec
	s_waitcnt vmcnt(0)
	v_readfirstlane_b32 s10, v8
	v_readfirstlane_b32 s11, v9
	s_and_b64 s[10:11], s[6:7], s[10:11]
	s_mul_i32 s12, s11, 24
	s_mul_hi_u32 s13, s10, 24
	s_mul_i32 s14, s10, 24
	s_add_i32 s12, s13, s12
	v_mov_b32_e32 v2, s12
	v_add_co_u32_e32 v8, vcc, s14, v4
	v_addc_co_u32_e32 v9, vcc, v5, v2, vcc
	s_and_saveexec_b64 s[12:13], s[4:5]
	s_cbranch_execz .LBB1_293
; %bb.292:                              ;   in Loop: Header=BB1_171 Depth=1
	v_mov_b32_e32 v49, s9
	v_mov_b32_e32 v48, s8
	global_store_dwordx4 v[8:9], v[48:51], off offset:8
.LBB1_293:                              ;   in Loop: Header=BB1_171 Depth=1
	s_or_b64 exec, exec, s[12:13]
	s_lshl_b64 s[8:9], s[10:11], 12
	v_mov_b32_e32 v2, s9
	v_add_co_u32_e32 v6, vcc, s8, v6
	v_addc_co_u32_e32 v7, vcc, v7, v2, vcc
	v_and_or_b32 v0, v0, s23, 32
	v_mov_b32_e32 v2, v38
	v_mov_b32_e32 v3, v38
	v_readfirstlane_b32 s8, v6
	v_readfirstlane_b32 s9, v7
	s_nop 4
	global_store_dwordx4 v40, v[0:3], s[8:9]
	s_nop 0
	v_mov_b32_e32 v0, s36
	v_mov_b32_e32 v1, s37
	;; [unrolled: 1-line block ×4, first 2 shown]
	global_store_dwordx4 v40, v[0:3], s[8:9] offset:16
	global_store_dwordx4 v40, v[0:3], s[8:9] offset:32
	;; [unrolled: 1-line block ×3, first 2 shown]
	s_and_saveexec_b64 s[8:9], s[4:5]
	s_cbranch_execz .LBB1_301
; %bb.294:                              ;   in Loop: Header=BB1_171 Depth=1
	global_load_dwordx2 v[12:13], v38, s[28:29] offset:32 glc
	global_load_dwordx2 v[0:1], v38, s[28:29] offset:40
	v_mov_b32_e32 v10, s6
	v_mov_b32_e32 v11, s7
	s_waitcnt vmcnt(0)
	v_readfirstlane_b32 s10, v0
	v_readfirstlane_b32 s11, v1
	s_and_b64 s[10:11], s[10:11], s[6:7]
	s_mul_i32 s11, s11, 24
	s_mul_hi_u32 s12, s10, 24
	s_mul_i32 s10, s10, 24
	s_add_i32 s11, s12, s11
	v_mov_b32_e32 v0, s11
	v_add_co_u32_e32 v4, vcc, s10, v4
	v_addc_co_u32_e32 v5, vcc, v5, v0, vcc
	global_store_dwordx2 v[4:5], v[12:13], off
	s_waitcnt vmcnt(0)
	global_atomic_cmpswap_x2 v[2:3], v38, v[10:13], s[28:29] offset:32 glc
	s_waitcnt vmcnt(0)
	v_cmp_ne_u64_e32 vcc, v[2:3], v[12:13]
	s_and_saveexec_b64 s[10:11], vcc
	s_cbranch_execz .LBB1_297
; %bb.295:                              ;   in Loop: Header=BB1_171 Depth=1
	s_mov_b64 s[12:13], 0
.LBB1_296:                              ;   Parent Loop BB1_171 Depth=1
                                        ; =>  This Inner Loop Header: Depth=2
	s_sleep 1
	global_store_dwordx2 v[4:5], v[2:3], off
	v_mov_b32_e32 v0, s6
	v_mov_b32_e32 v1, s7
	s_waitcnt vmcnt(0)
	global_atomic_cmpswap_x2 v[0:1], v38, v[0:3], s[28:29] offset:32 glc
	s_waitcnt vmcnt(0)
	v_cmp_eq_u64_e32 vcc, v[0:1], v[2:3]
	v_mov_b32_e32 v3, v1
	s_or_b64 s[12:13], vcc, s[12:13]
	v_mov_b32_e32 v2, v0
	s_andn2_b64 exec, exec, s[12:13]
	s_cbranch_execnz .LBB1_296
.LBB1_297:                              ;   in Loop: Header=BB1_171 Depth=1
	s_or_b64 exec, exec, s[10:11]
	global_load_dwordx2 v[0:1], v38, s[28:29] offset:16
	s_mov_b64 s[12:13], exec
	v_mbcnt_lo_u32_b32 v2, s12, 0
	v_mbcnt_hi_u32_b32 v2, s13, v2
	v_cmp_eq_u32_e32 vcc, 0, v2
	s_and_saveexec_b64 s[10:11], vcc
	s_cbranch_execz .LBB1_299
; %bb.298:                              ;   in Loop: Header=BB1_171 Depth=1
	s_bcnt1_i32_b64 s12, s[12:13]
	v_mov_b32_e32 v37, s12
	s_waitcnt vmcnt(0)
	global_atomic_add_x2 v[0:1], v[37:38], off offset:8
.LBB1_299:                              ;   in Loop: Header=BB1_171 Depth=1
	s_or_b64 exec, exec, s[10:11]
	s_waitcnt vmcnt(0)
	global_load_dwordx2 v[2:3], v[0:1], off offset:16
	s_waitcnt vmcnt(0)
	v_cmp_eq_u64_e32 vcc, 0, v[2:3]
	s_cbranch_vccnz .LBB1_301
; %bb.300:                              ;   in Loop: Header=BB1_171 Depth=1
	global_load_dword v37, v[0:1], off offset:24
	s_waitcnt vmcnt(0)
	v_and_b32_e32 v0, 0xffffff, v37
	v_readfirstlane_b32 m0, v0
	global_store_dwordx2 v[2:3], v[37:38], off
	s_sendmsg sendmsg(MSG_INTERRUPT)
.LBB1_301:                              ;   in Loop: Header=BB1_171 Depth=1
	s_or_b64 exec, exec, s[8:9]
	v_add_co_u32_e32 v0, vcc, v6, v40
	v_addc_co_u32_e32 v1, vcc, 0, v7, vcc
	s_branch .LBB1_305
.LBB1_302:                              ;   in Loop: Header=BB1_305 Depth=2
	s_or_b64 exec, exec, s[8:9]
	v_readfirstlane_b32 s8, v2
	s_cmp_eq_u32 s8, 0
	s_cbranch_scc1 .LBB1_304
; %bb.303:                              ;   in Loop: Header=BB1_305 Depth=2
	s_sleep 1
	s_cbranch_execnz .LBB1_305
	s_branch .LBB1_307
.LBB1_304:                              ;   in Loop: Header=BB1_171 Depth=1
	s_branch .LBB1_307
.LBB1_305:                              ;   Parent Loop BB1_171 Depth=1
                                        ; =>  This Inner Loop Header: Depth=2
	v_mov_b32_e32 v2, 1
	s_and_saveexec_b64 s[8:9], s[4:5]
	s_cbranch_execz .LBB1_302
; %bb.306:                              ;   in Loop: Header=BB1_305 Depth=2
	global_load_dword v2, v[8:9], off offset:20 glc
	s_waitcnt vmcnt(0)
	buffer_wbinvl1_vol
	v_and_b32_e32 v2, 1, v2
	s_branch .LBB1_302
.LBB1_307:                              ;   in Loop: Header=BB1_171 Depth=1
	global_load_dwordx2 v[2:3], v[0:1], off
	s_and_saveexec_b64 s[8:9], s[4:5]
	s_cbranch_execz .LBB1_311
; %bb.308:                              ;   in Loop: Header=BB1_171 Depth=1
	global_load_dwordx2 v[0:1], v38, s[28:29] offset:40
	global_load_dwordx2 v[8:9], v38, s[28:29] offset:24 glc
	global_load_dwordx2 v[10:11], v38, s[28:29]
	v_mov_b32_e32 v5, s7
	s_waitcnt vmcnt(0)
	v_add_co_u32_e32 v6, vcc, 1, v0
	v_addc_co_u32_e32 v7, vcc, 0, v1, vcc
	v_add_co_u32_e32 v4, vcc, s6, v6
	v_addc_co_u32_e32 v5, vcc, v7, v5, vcc
	v_cmp_eq_u64_e32 vcc, 0, v[4:5]
	v_cndmask_b32_e32 v5, v5, v7, vcc
	v_cndmask_b32_e32 v4, v4, v6, vcc
	v_and_b32_e32 v1, v5, v1
	v_and_b32_e32 v0, v4, v0
	v_mul_lo_u32 v1, v1, 24
	v_mul_hi_u32 v7, v0, 24
	v_mul_lo_u32 v0, v0, 24
	v_mov_b32_e32 v6, v8
	v_add_u32_e32 v1, v7, v1
	v_add_co_u32_e32 v0, vcc, v10, v0
	v_addc_co_u32_e32 v1, vcc, v11, v1, vcc
	global_store_dwordx2 v[0:1], v[8:9], off
	v_mov_b32_e32 v7, v9
	s_waitcnt vmcnt(0)
	global_atomic_cmpswap_x2 v[6:7], v38, v[4:7], s[28:29] offset:24 glc
	s_waitcnt vmcnt(0)
	v_cmp_ne_u64_e32 vcc, v[6:7], v[8:9]
	s_and_b64 exec, exec, vcc
	s_cbranch_execz .LBB1_311
; %bb.309:                              ;   in Loop: Header=BB1_171 Depth=1
	s_mov_b64 s[4:5], 0
.LBB1_310:                              ;   Parent Loop BB1_171 Depth=1
                                        ; =>  This Inner Loop Header: Depth=2
	s_sleep 1
	global_store_dwordx2 v[0:1], v[6:7], off
	s_waitcnt vmcnt(0)
	global_atomic_cmpswap_x2 v[8:9], v38, v[4:7], s[28:29] offset:24 glc
	s_waitcnt vmcnt(0)
	v_cmp_eq_u64_e32 vcc, v[8:9], v[6:7]
	v_mov_b32_e32 v6, v8
	s_or_b64 s[4:5], vcc, s[4:5]
	v_mov_b32_e32 v7, v9
	s_andn2_b64 exec, exec, s[4:5]
	s_cbranch_execnz .LBB1_310
.LBB1_311:                              ;   in Loop: Header=BB1_171 Depth=1
	s_or_b64 exec, exec, s[8:9]
.LBB1_312:                              ;   in Loop: Header=BB1_171 Depth=1
	v_readfirstlane_b32 s4, v55
	s_waitcnt vmcnt(0)
	v_mov_b32_e32 v0, 0
	v_mov_b32_e32 v1, 0
	v_cmp_eq_u32_e64 s[4:5], s4, v55
	s_and_saveexec_b64 s[6:7], s[4:5]
	s_cbranch_execz .LBB1_318
; %bb.313:                              ;   in Loop: Header=BB1_171 Depth=1
	global_load_dwordx2 v[6:7], v38, s[28:29] offset:24 glc
	s_waitcnt vmcnt(0)
	buffer_wbinvl1_vol
	global_load_dwordx2 v[0:1], v38, s[28:29] offset:40
	global_load_dwordx2 v[4:5], v38, s[28:29]
	s_waitcnt vmcnt(0)
	v_and_b32_e32 v0, v0, v6
	v_and_b32_e32 v1, v1, v7
	v_mul_lo_u32 v1, v1, 24
	v_mul_hi_u32 v8, v0, 24
	v_mul_lo_u32 v0, v0, 24
	v_add_u32_e32 v1, v8, v1
	v_add_co_u32_e32 v0, vcc, v4, v0
	v_addc_co_u32_e32 v1, vcc, v5, v1, vcc
	global_load_dwordx2 v[4:5], v[0:1], off glc
	s_waitcnt vmcnt(0)
	global_atomic_cmpswap_x2 v[0:1], v38, v[4:7], s[28:29] offset:24 glc
	s_waitcnt vmcnt(0)
	buffer_wbinvl1_vol
	v_cmp_ne_u64_e32 vcc, v[0:1], v[6:7]
	s_and_saveexec_b64 s[8:9], vcc
	s_cbranch_execz .LBB1_317
; %bb.314:                              ;   in Loop: Header=BB1_171 Depth=1
	s_mov_b64 s[10:11], 0
.LBB1_315:                              ;   Parent Loop BB1_171 Depth=1
                                        ; =>  This Inner Loop Header: Depth=2
	s_sleep 1
	global_load_dwordx2 v[4:5], v38, s[28:29] offset:40
	global_load_dwordx2 v[8:9], v38, s[28:29]
	v_mov_b32_e32 v7, v1
	v_mov_b32_e32 v6, v0
	s_waitcnt vmcnt(0)
	v_and_b32_e32 v0, v4, v6
	v_mad_u64_u32 v[0:1], s[12:13], v0, 24, v[8:9]
	v_and_b32_e32 v4, v5, v7
	v_mad_u64_u32 v[4:5], s[12:13], v4, 24, v[1:2]
	v_mov_b32_e32 v1, v4
	global_load_dwordx2 v[4:5], v[0:1], off glc
	s_waitcnt vmcnt(0)
	global_atomic_cmpswap_x2 v[0:1], v38, v[4:7], s[28:29] offset:24 glc
	s_waitcnt vmcnt(0)
	buffer_wbinvl1_vol
	v_cmp_eq_u64_e32 vcc, v[0:1], v[6:7]
	s_or_b64 s[10:11], vcc, s[10:11]
	s_andn2_b64 exec, exec, s[10:11]
	s_cbranch_execnz .LBB1_315
; %bb.316:                              ;   in Loop: Header=BB1_171 Depth=1
	s_or_b64 exec, exec, s[10:11]
.LBB1_317:                              ;   in Loop: Header=BB1_171 Depth=1
	s_or_b64 exec, exec, s[8:9]
.LBB1_318:                              ;   in Loop: Header=BB1_171 Depth=1
	s_or_b64 exec, exec, s[6:7]
	global_load_dwordx2 v[4:5], v38, s[28:29] offset:40
	global_load_dwordx4 v[6:9], v38, s[28:29]
	v_readfirstlane_b32 s6, v0
	v_readfirstlane_b32 s7, v1
	s_mov_b64 s[8:9], exec
	s_waitcnt vmcnt(0)
	v_readfirstlane_b32 s10, v4
	v_readfirstlane_b32 s11, v5
	s_and_b64 s[10:11], s[6:7], s[10:11]
	s_mul_i32 s12, s11, 24
	s_mul_hi_u32 s13, s10, 24
	s_mul_i32 s14, s10, 24
	s_add_i32 s12, s13, s12
	v_mov_b32_e32 v0, s12
	v_add_co_u32_e32 v10, vcc, s14, v6
	v_addc_co_u32_e32 v11, vcc, v7, v0, vcc
	s_and_saveexec_b64 s[12:13], s[4:5]
	s_cbranch_execz .LBB1_320
; %bb.319:                              ;   in Loop: Header=BB1_171 Depth=1
	v_mov_b32_e32 v49, s9
	v_mov_b32_e32 v48, s8
	global_store_dwordx4 v[10:11], v[48:51], off offset:8
.LBB1_320:                              ;   in Loop: Header=BB1_171 Depth=1
	s_or_b64 exec, exec, s[12:13]
	s_lshl_b64 s[8:9], s[10:11], 12
	v_mov_b32_e32 v0, s9
	v_add_co_u32_e32 v1, vcc, s8, v8
	v_addc_co_u32_e32 v0, vcc, v9, v0, vcc
	v_and_or_b32 v2, v2, s40, 34
	s_waitcnt lgkmcnt(0)
	v_ashrrev_i32_e32 v5, 31, v24
	v_mov_b32_e32 v4, v24
	v_readfirstlane_b32 s8, v1
	v_readfirstlane_b32 s9, v0
	s_nop 4
	global_store_dwordx4 v40, v[2:5], s[8:9]
	v_mov_b32_e32 v0, s36
	v_mov_b32_e32 v1, s37
	;; [unrolled: 1-line block ×4, first 2 shown]
	global_store_dwordx4 v40, v[0:3], s[8:9] offset:16
	global_store_dwordx4 v40, v[0:3], s[8:9] offset:32
	;; [unrolled: 1-line block ×3, first 2 shown]
	s_and_saveexec_b64 s[8:9], s[4:5]
	s_cbranch_execz .LBB1_328
; %bb.321:                              ;   in Loop: Header=BB1_171 Depth=1
	global_load_dwordx2 v[14:15], v38, s[28:29] offset:32 glc
	global_load_dwordx2 v[0:1], v38, s[28:29] offset:40
	v_mov_b32_e32 v12, s6
	v_mov_b32_e32 v13, s7
	s_waitcnt vmcnt(0)
	v_readfirstlane_b32 s10, v0
	v_readfirstlane_b32 s11, v1
	s_and_b64 s[10:11], s[10:11], s[6:7]
	s_mul_i32 s11, s11, 24
	s_mul_hi_u32 s12, s10, 24
	s_mul_i32 s10, s10, 24
	s_add_i32 s11, s12, s11
	v_mov_b32_e32 v0, s11
	v_add_co_u32_e32 v4, vcc, s10, v6
	v_addc_co_u32_e32 v5, vcc, v7, v0, vcc
	global_store_dwordx2 v[4:5], v[14:15], off
	s_waitcnt vmcnt(0)
	global_atomic_cmpswap_x2 v[2:3], v38, v[12:15], s[28:29] offset:32 glc
	s_waitcnt vmcnt(0)
	v_cmp_ne_u64_e32 vcc, v[2:3], v[14:15]
	s_and_saveexec_b64 s[10:11], vcc
	s_cbranch_execz .LBB1_324
; %bb.322:                              ;   in Loop: Header=BB1_171 Depth=1
	s_mov_b64 s[12:13], 0
.LBB1_323:                              ;   Parent Loop BB1_171 Depth=1
                                        ; =>  This Inner Loop Header: Depth=2
	s_sleep 1
	global_store_dwordx2 v[4:5], v[2:3], off
	v_mov_b32_e32 v0, s6
	v_mov_b32_e32 v1, s7
	s_waitcnt vmcnt(0)
	global_atomic_cmpswap_x2 v[0:1], v38, v[0:3], s[28:29] offset:32 glc
	s_waitcnt vmcnt(0)
	v_cmp_eq_u64_e32 vcc, v[0:1], v[2:3]
	v_mov_b32_e32 v3, v1
	s_or_b64 s[12:13], vcc, s[12:13]
	v_mov_b32_e32 v2, v0
	s_andn2_b64 exec, exec, s[12:13]
	s_cbranch_execnz .LBB1_323
.LBB1_324:                              ;   in Loop: Header=BB1_171 Depth=1
	s_or_b64 exec, exec, s[10:11]
	global_load_dwordx2 v[0:1], v38, s[28:29] offset:16
	s_mov_b64 s[12:13], exec
	v_mbcnt_lo_u32_b32 v2, s12, 0
	v_mbcnt_hi_u32_b32 v2, s13, v2
	v_cmp_eq_u32_e32 vcc, 0, v2
	s_and_saveexec_b64 s[10:11], vcc
	s_cbranch_execz .LBB1_326
; %bb.325:                              ;   in Loop: Header=BB1_171 Depth=1
	s_bcnt1_i32_b64 s12, s[12:13]
	v_mov_b32_e32 v37, s12
	s_waitcnt vmcnt(0)
	global_atomic_add_x2 v[0:1], v[37:38], off offset:8
.LBB1_326:                              ;   in Loop: Header=BB1_171 Depth=1
	s_or_b64 exec, exec, s[10:11]
	s_waitcnt vmcnt(0)
	global_load_dwordx2 v[2:3], v[0:1], off offset:16
	s_waitcnt vmcnt(0)
	v_cmp_eq_u64_e32 vcc, 0, v[2:3]
	s_cbranch_vccnz .LBB1_328
; %bb.327:                              ;   in Loop: Header=BB1_171 Depth=1
	global_load_dword v37, v[0:1], off offset:24
	s_waitcnt vmcnt(0)
	v_and_b32_e32 v0, 0xffffff, v37
	v_readfirstlane_b32 m0, v0
	global_store_dwordx2 v[2:3], v[37:38], off
	s_sendmsg sendmsg(MSG_INTERRUPT)
.LBB1_328:                              ;   in Loop: Header=BB1_171 Depth=1
	s_or_b64 exec, exec, s[8:9]
	s_branch .LBB1_332
.LBB1_329:                              ;   in Loop: Header=BB1_332 Depth=2
	s_or_b64 exec, exec, s[8:9]
	v_readfirstlane_b32 s8, v0
	s_cmp_eq_u32 s8, 0
	s_cbranch_scc1 .LBB1_331
; %bb.330:                              ;   in Loop: Header=BB1_332 Depth=2
	s_sleep 1
	s_cbranch_execnz .LBB1_332
	s_branch .LBB1_334
.LBB1_331:                              ;   in Loop: Header=BB1_171 Depth=1
	s_branch .LBB1_334
.LBB1_332:                              ;   Parent Loop BB1_171 Depth=1
                                        ; =>  This Inner Loop Header: Depth=2
	v_mov_b32_e32 v0, 1
	s_and_saveexec_b64 s[8:9], s[4:5]
	s_cbranch_execz .LBB1_329
; %bb.333:                              ;   in Loop: Header=BB1_332 Depth=2
	global_load_dword v0, v[10:11], off offset:20 glc
	s_waitcnt vmcnt(0)
	buffer_wbinvl1_vol
	v_and_b32_e32 v0, 1, v0
	s_branch .LBB1_329
.LBB1_334:                              ;   in Loop: Header=BB1_171 Depth=1
	s_and_saveexec_b64 s[8:9], s[4:5]
	s_cbranch_execz .LBB1_170
; %bb.335:                              ;   in Loop: Header=BB1_171 Depth=1
	global_load_dwordx2 v[2:3], v38, s[28:29] offset:40
	global_load_dwordx2 v[6:7], v38, s[28:29] offset:24 glc
	global_load_dwordx2 v[4:5], v38, s[28:29]
	v_mov_b32_e32 v1, s7
	s_waitcnt vmcnt(2)
	v_add_co_u32_e32 v8, vcc, 1, v2
	v_addc_co_u32_e32 v9, vcc, 0, v3, vcc
	v_add_co_u32_e32 v0, vcc, s6, v8
	v_addc_co_u32_e32 v1, vcc, v9, v1, vcc
	v_cmp_eq_u64_e32 vcc, 0, v[0:1]
	v_cndmask_b32_e32 v1, v1, v9, vcc
	v_cndmask_b32_e32 v0, v0, v8, vcc
	v_and_b32_e32 v3, v1, v3
	v_and_b32_e32 v2, v0, v2
	v_mul_lo_u32 v3, v3, 24
	v_mul_hi_u32 v8, v2, 24
	v_mul_lo_u32 v9, v2, 24
	s_waitcnt vmcnt(1)
	v_mov_b32_e32 v2, v6
	v_add_u32_e32 v3, v8, v3
	s_waitcnt vmcnt(0)
	v_add_co_u32_e32 v4, vcc, v4, v9
	v_addc_co_u32_e32 v5, vcc, v5, v3, vcc
	global_store_dwordx2 v[4:5], v[6:7], off
	v_mov_b32_e32 v3, v7
	s_waitcnt vmcnt(0)
	global_atomic_cmpswap_x2 v[2:3], v38, v[0:3], s[28:29] offset:24 glc
	s_waitcnt vmcnt(0)
	v_cmp_ne_u64_e32 vcc, v[2:3], v[6:7]
	s_and_b64 exec, exec, vcc
	s_cbranch_execz .LBB1_170
; %bb.336:                              ;   in Loop: Header=BB1_171 Depth=1
	s_mov_b64 s[4:5], 0
.LBB1_337:                              ;   Parent Loop BB1_171 Depth=1
                                        ; =>  This Inner Loop Header: Depth=2
	s_sleep 1
	global_store_dwordx2 v[4:5], v[2:3], off
	s_waitcnt vmcnt(0)
	global_atomic_cmpswap_x2 v[6:7], v38, v[0:3], s[28:29] offset:24 glc
	s_waitcnt vmcnt(0)
	v_cmp_eq_u64_e32 vcc, v[6:7], v[2:3]
	v_mov_b32_e32 v2, v6
	s_or_b64 s[4:5], vcc, s[4:5]
	v_mov_b32_e32 v3, v7
	s_andn2_b64 exec, exec, s[4:5]
	s_cbranch_execnz .LBB1_337
	s_branch .LBB1_170
.LBB1_338:
	v_readlane_b32 s30, v41, 0
	v_readlane_b32 s31, v41, 1
	;; [unrolled: 1-line block ×3, first 2 shown]
	s_or_saveexec_b64 s[6:7], -1
	buffer_load_dword v41, off, s[0:3], s33 ; 4-byte Folded Reload
	s_mov_b64 exec, s[6:7]
	s_addk_i32 s32, 0xfc00
	s_mov_b32 s33, s4
	s_waitcnt vmcnt(0) lgkmcnt(0)
	s_setpc_b64 s[30:31]
.Lfunc_end1:
	.size	_ZN8migraphx4testlsIKNS_13basic_printerIZNS_4coutEvEUlT_E_EEEERS3_S7_RKNS0_10expressionINS0_14lhs_expressionIRNS_5arrayIiLj6EEENS0_3nopEEESC_NS0_5equalEEE, .Lfunc_end1-_ZN8migraphx4testlsIKNS_13basic_printerIZNS_4coutEvEUlT_E_EEEERS3_S7_RKNS0_10expressionINS0_14lhs_expressionIRNS_5arrayIiLj6EEENS0_3nopEEESC_NS0_5equalEEE
                                        ; -- End function
	.section	.AMDGPU.csdata,"",@progbits
; Function info:
; codeLenInByte = 11708
; NumSgprs: 45
; NumVgprs: 56
; ScratchSize: 16
; MemoryBound: 0
	.text
	.p2align	2                               ; -- Begin function _ZNK8migraphx13basic_printerIZNS_4coutEvEUlT_E_ElsEc
	.type	_ZNK8migraphx13basic_printerIZNS_4coutEvEUlT_E_ElsEc,@function
_ZNK8migraphx13basic_printerIZNS_4coutEvEUlT_E_ElsEc: ; @_ZNK8migraphx13basic_printerIZNS_4coutEvEUlT_E_ElsEc
; %bb.0:
	s_waitcnt vmcnt(0) expcnt(0) lgkmcnt(0)
	s_load_dwordx2 s[6:7], s[8:9], 0x50
	v_mbcnt_lo_u32_b32 v1, -1, 0
	v_mbcnt_hi_u32_b32 v33, -1, v1
	v_readfirstlane_b32 s4, v33
	v_mov_b32_e32 v6, 0
	v_mov_b32_e32 v7, 0
	v_cmp_eq_u32_e64 s[4:5], s4, v33
	s_and_saveexec_b64 s[8:9], s[4:5]
	s_cbranch_execz .LBB2_6
; %bb.1:
	v_mov_b32_e32 v1, 0
	s_waitcnt lgkmcnt(0)
	global_load_dwordx2 v[4:5], v1, s[6:7] offset:24 glc
	s_waitcnt vmcnt(0)
	buffer_wbinvl1_vol
	global_load_dwordx2 v[2:3], v1, s[6:7] offset:40
	global_load_dwordx2 v[6:7], v1, s[6:7]
	s_waitcnt vmcnt(1)
	v_and_b32_e32 v2, v2, v4
	v_and_b32_e32 v3, v3, v5
	v_mul_lo_u32 v3, v3, 24
	v_mul_hi_u32 v8, v2, 24
	v_mul_lo_u32 v2, v2, 24
	v_add_u32_e32 v3, v8, v3
	s_waitcnt vmcnt(0)
	v_add_co_u32_e32 v2, vcc, v6, v2
	v_addc_co_u32_e32 v3, vcc, v7, v3, vcc
	global_load_dwordx2 v[2:3], v[2:3], off glc
	s_waitcnt vmcnt(0)
	global_atomic_cmpswap_x2 v[6:7], v1, v[2:5], s[6:7] offset:24 glc
	s_waitcnt vmcnt(0)
	buffer_wbinvl1_vol
	v_cmp_ne_u64_e32 vcc, v[6:7], v[4:5]
	s_and_saveexec_b64 s[10:11], vcc
	s_cbranch_execz .LBB2_5
; %bb.2:
	s_mov_b64 s[12:13], 0
.LBB2_3:                                ; =>This Inner Loop Header: Depth=1
	s_sleep 1
	global_load_dwordx2 v[2:3], v1, s[6:7] offset:40
	global_load_dwordx2 v[8:9], v1, s[6:7]
	v_mov_b32_e32 v4, v6
	v_mov_b32_e32 v5, v7
	s_waitcnt vmcnt(1)
	v_and_b32_e32 v2, v2, v4
	s_waitcnt vmcnt(0)
	v_mad_u64_u32 v[6:7], s[14:15], v2, 24, v[8:9]
	v_and_b32_e32 v3, v3, v5
	v_mov_b32_e32 v2, v7
	v_mad_u64_u32 v[2:3], s[14:15], v3, 24, v[2:3]
	v_mov_b32_e32 v7, v2
	global_load_dwordx2 v[2:3], v[6:7], off glc
	s_waitcnt vmcnt(0)
	global_atomic_cmpswap_x2 v[6:7], v1, v[2:5], s[6:7] offset:24 glc
	s_waitcnt vmcnt(0)
	buffer_wbinvl1_vol
	v_cmp_eq_u64_e32 vcc, v[6:7], v[4:5]
	s_or_b64 s[12:13], vcc, s[12:13]
	s_andn2_b64 exec, exec, s[12:13]
	s_cbranch_execnz .LBB2_3
; %bb.4:
	s_or_b64 exec, exec, s[12:13]
.LBB2_5:
	s_or_b64 exec, exec, s[10:11]
.LBB2_6:
	s_or_b64 exec, exec, s[8:9]
	v_mov_b32_e32 v5, 0
	s_waitcnt lgkmcnt(0)
	global_load_dwordx2 v[8:9], v5, s[6:7] offset:40
	global_load_dwordx4 v[1:4], v5, s[6:7]
	v_readfirstlane_b32 s8, v6
	v_readfirstlane_b32 s9, v7
	s_mov_b64 s[10:11], exec
	s_waitcnt vmcnt(1)
	v_readfirstlane_b32 s12, v8
	v_readfirstlane_b32 s13, v9
	s_and_b64 s[12:13], s[8:9], s[12:13]
	s_mul_i32 s14, s13, 24
	s_mul_hi_u32 s15, s12, 24
	s_mul_i32 s16, s12, 24
	s_add_i32 s14, s15, s14
	v_mov_b32_e32 v6, s14
	s_waitcnt vmcnt(0)
	v_add_co_u32_e32 v8, vcc, s16, v1
	v_addc_co_u32_e32 v9, vcc, v2, v6, vcc
	s_and_saveexec_b64 s[14:15], s[4:5]
	s_cbranch_execz .LBB2_8
; %bb.7:
	v_mov_b32_e32 v10, s10
	v_mov_b32_e32 v11, s11
	;; [unrolled: 1-line block ×4, first 2 shown]
	global_store_dwordx4 v[8:9], v[10:13], off offset:8
.LBB2_8:
	s_or_b64 exec, exec, s[14:15]
	s_lshl_b64 s[10:11], s[12:13], 12
	v_mov_b32_e32 v6, s11
	v_add_co_u32_e32 v3, vcc, s10, v3
	v_addc_co_u32_e32 v12, vcc, v4, v6, vcc
	s_mov_b32 s12, 0
	v_lshlrev_b32_e32 v32, 6, v33
	v_mov_b32_e32 v4, 33
	v_mov_b32_e32 v6, v5
	v_mov_b32_e32 v7, v5
	v_readfirstlane_b32 s10, v3
	v_readfirstlane_b32 s11, v12
	v_add_co_u32_e32 v10, vcc, v3, v32
	s_mov_b32 s13, s12
	s_mov_b32 s14, s12
	;; [unrolled: 1-line block ×3, first 2 shown]
	s_nop 0
	global_store_dwordx4 v32, v[4:7], s[10:11]
	v_mov_b32_e32 v3, s12
	v_addc_co_u32_e32 v11, vcc, 0, v12, vcc
	v_mov_b32_e32 v4, s13
	v_mov_b32_e32 v5, s14
	;; [unrolled: 1-line block ×3, first 2 shown]
	global_store_dwordx4 v32, v[3:6], s[10:11] offset:16
	global_store_dwordx4 v32, v[3:6], s[10:11] offset:32
	;; [unrolled: 1-line block ×3, first 2 shown]
	s_and_saveexec_b64 s[10:11], s[4:5]
	s_cbranch_execz .LBB2_16
; %bb.9:
	v_mov_b32_e32 v7, 0
	global_load_dwordx2 v[14:15], v7, s[6:7] offset:32 glc
	global_load_dwordx2 v[3:4], v7, s[6:7] offset:40
	v_mov_b32_e32 v12, s8
	v_mov_b32_e32 v13, s9
	s_waitcnt vmcnt(0)
	v_and_b32_e32 v3, s8, v3
	v_and_b32_e32 v4, s9, v4
	v_mul_lo_u32 v4, v4, 24
	v_mul_hi_u32 v5, v3, 24
	v_mul_lo_u32 v3, v3, 24
	v_add_u32_e32 v4, v5, v4
	v_add_co_u32_e32 v5, vcc, v1, v3
	v_addc_co_u32_e32 v6, vcc, v2, v4, vcc
	global_store_dwordx2 v[5:6], v[14:15], off
	s_waitcnt vmcnt(0)
	global_atomic_cmpswap_x2 v[3:4], v7, v[12:15], s[6:7] offset:32 glc
	s_waitcnt vmcnt(0)
	v_cmp_ne_u64_e32 vcc, v[3:4], v[14:15]
	s_and_saveexec_b64 s[12:13], vcc
	s_cbranch_execz .LBB2_12
; %bb.10:
	s_mov_b64 s[14:15], 0
.LBB2_11:                               ; =>This Inner Loop Header: Depth=1
	s_sleep 1
	global_store_dwordx2 v[5:6], v[3:4], off
	v_mov_b32_e32 v1, s8
	v_mov_b32_e32 v2, s9
	s_waitcnt vmcnt(0)
	global_atomic_cmpswap_x2 v[1:2], v7, v[1:4], s[6:7] offset:32 glc
	s_waitcnt vmcnt(0)
	v_cmp_eq_u64_e32 vcc, v[1:2], v[3:4]
	v_mov_b32_e32 v4, v2
	s_or_b64 s[14:15], vcc, s[14:15]
	v_mov_b32_e32 v3, v1
	s_andn2_b64 exec, exec, s[14:15]
	s_cbranch_execnz .LBB2_11
.LBB2_12:
	s_or_b64 exec, exec, s[12:13]
	v_mov_b32_e32 v4, 0
	global_load_dwordx2 v[1:2], v4, s[6:7] offset:16
	s_mov_b64 s[12:13], exec
	v_mbcnt_lo_u32_b32 v3, s12, 0
	v_mbcnt_hi_u32_b32 v3, s13, v3
	v_cmp_eq_u32_e32 vcc, 0, v3
	s_and_saveexec_b64 s[14:15], vcc
	s_cbranch_execz .LBB2_14
; %bb.13:
	s_bcnt1_i32_b64 s12, s[12:13]
	v_mov_b32_e32 v3, s12
	s_waitcnt vmcnt(0)
	global_atomic_add_x2 v[1:2], v[3:4], off offset:8
.LBB2_14:
	s_or_b64 exec, exec, s[14:15]
	s_waitcnt vmcnt(0)
	global_load_dwordx2 v[3:4], v[1:2], off offset:16
	s_waitcnt vmcnt(0)
	v_cmp_eq_u64_e32 vcc, 0, v[3:4]
	s_cbranch_vccnz .LBB2_16
; %bb.15:
	global_load_dword v1, v[1:2], off offset:24
	v_mov_b32_e32 v2, 0
	s_waitcnt vmcnt(0)
	global_store_dwordx2 v[3:4], v[1:2], off
	v_and_b32_e32 v1, 0xffffff, v1
	v_readfirstlane_b32 m0, v1
	s_sendmsg sendmsg(MSG_INTERRUPT)
.LBB2_16:
	s_or_b64 exec, exec, s[10:11]
	s_branch .LBB2_20
.LBB2_17:                               ;   in Loop: Header=BB2_20 Depth=1
	s_or_b64 exec, exec, s[10:11]
	v_readfirstlane_b32 s10, v1
	s_cmp_eq_u32 s10, 0
	s_cbranch_scc1 .LBB2_19
; %bb.18:                               ;   in Loop: Header=BB2_20 Depth=1
	s_sleep 1
	s_cbranch_execnz .LBB2_20
	s_branch .LBB2_22
.LBB2_19:
	s_branch .LBB2_22
.LBB2_20:                               ; =>This Inner Loop Header: Depth=1
	v_mov_b32_e32 v1, 1
	s_and_saveexec_b64 s[10:11], s[4:5]
	s_cbranch_execz .LBB2_17
; %bb.21:                               ;   in Loop: Header=BB2_20 Depth=1
	global_load_dword v1, v[8:9], off offset:20 glc
	s_waitcnt vmcnt(0)
	buffer_wbinvl1_vol
	v_and_b32_e32 v1, 1, v1
	s_branch .LBB2_17
.LBB2_22:
	global_load_dwordx2 v[1:2], v[10:11], off
	s_and_saveexec_b64 s[10:11], s[4:5]
	s_cbranch_execz .LBB2_25
; %bb.23:
	v_mov_b32_e32 v9, 0
	global_load_dwordx2 v[5:6], v9, s[6:7] offset:40
	global_load_dwordx2 v[10:11], v9, s[6:7] offset:24 glc
	global_load_dwordx2 v[7:8], v9, s[6:7]
	v_mov_b32_e32 v4, s9
	s_mov_b64 s[4:5], 0
	s_waitcnt vmcnt(2)
	v_add_co_u32_e32 v12, vcc, 1, v5
	v_addc_co_u32_e32 v13, vcc, 0, v6, vcc
	v_add_co_u32_e32 v3, vcc, s8, v12
	v_addc_co_u32_e32 v4, vcc, v13, v4, vcc
	v_cmp_eq_u64_e32 vcc, 0, v[3:4]
	v_cndmask_b32_e32 v4, v4, v13, vcc
	v_cndmask_b32_e32 v3, v3, v12, vcc
	v_and_b32_e32 v6, v4, v6
	v_and_b32_e32 v5, v3, v5
	v_mul_lo_u32 v6, v6, 24
	v_mul_hi_u32 v12, v5, 24
	v_mul_lo_u32 v13, v5, 24
	s_waitcnt vmcnt(1)
	v_mov_b32_e32 v5, v10
	v_add_u32_e32 v6, v12, v6
	s_waitcnt vmcnt(0)
	v_add_co_u32_e32 v7, vcc, v7, v13
	v_addc_co_u32_e32 v8, vcc, v8, v6, vcc
	global_store_dwordx2 v[7:8], v[10:11], off
	v_mov_b32_e32 v6, v11
	s_waitcnt vmcnt(0)
	global_atomic_cmpswap_x2 v[5:6], v9, v[3:6], s[6:7] offset:24 glc
	s_waitcnt vmcnt(0)
	v_cmp_ne_u64_e32 vcc, v[5:6], v[10:11]
	s_and_b64 exec, exec, vcc
	s_cbranch_execz .LBB2_25
.LBB2_24:                               ; =>This Inner Loop Header: Depth=1
	s_sleep 1
	global_store_dwordx2 v[7:8], v[5:6], off
	s_waitcnt vmcnt(0)
	global_atomic_cmpswap_x2 v[10:11], v9, v[3:6], s[6:7] offset:24 glc
	s_waitcnt vmcnt(0)
	v_cmp_eq_u64_e32 vcc, v[10:11], v[5:6]
	v_mov_b32_e32 v5, v10
	s_or_b64 s[4:5], vcc, s[4:5]
	v_mov_b32_e32 v6, v11
	s_andn2_b64 exec, exec, s[4:5]
	s_cbranch_execnz .LBB2_24
.LBB2_25:
	s_or_b64 exec, exec, s[10:11]
	s_getpc_b64 s[8:9]
	s_add_u32 s8, s8, .str.6@rel32@lo+4
	s_addc_u32 s9, s9, .str.6@rel32@hi+12
	s_cmp_lg_u64 s[8:9], 0
	s_cbranch_scc0 .LBB2_110
; %bb.26:
	s_waitcnt vmcnt(0)
	v_and_b32_e32 v34, 2, v1
	v_mov_b32_e32 v29, 0
	v_and_b32_e32 v3, -3, v1
	v_mov_b32_e32 v4, v2
	s_mov_b64 s[10:11], 3
	v_mov_b32_e32 v7, 2
	v_mov_b32_e32 v8, 1
	s_branch .LBB2_28
.LBB2_27:                               ;   in Loop: Header=BB2_28 Depth=1
	s_or_b64 exec, exec, s[16:17]
	s_sub_u32 s10, s10, s12
	s_subb_u32 s11, s11, s13
	s_add_u32 s8, s8, s12
	s_addc_u32 s9, s9, s13
	s_cmp_lg_u64 s[10:11], 0
	s_cbranch_scc0 .LBB2_109
.LBB2_28:                               ; =>This Loop Header: Depth=1
                                        ;     Child Loop BB2_31 Depth 2
                                        ;     Child Loop BB2_38 Depth 2
	;; [unrolled: 1-line block ×11, first 2 shown]
	v_cmp_lt_u64_e64 s[4:5], s[10:11], 56
	v_cmp_gt_u64_e64 s[14:15], s[10:11], 7
	s_and_b64 s[4:5], s[4:5], exec
	s_cselect_b32 s13, s11, 0
	s_cselect_b32 s12, s10, 56
	s_and_b64 vcc, exec, s[14:15]
	s_cbranch_vccnz .LBB2_33
; %bb.29:                               ;   in Loop: Header=BB2_28 Depth=1
	v_mov_b32_e32 v11, 0
	s_cmp_eq_u64 s[10:11], 0
	v_mov_b32_e32 v12, 0
	s_mov_b64 s[4:5], 0
	s_cbranch_scc1 .LBB2_32
; %bb.30:                               ;   in Loop: Header=BB2_28 Depth=1
	v_mov_b32_e32 v11, 0
	s_lshl_b64 s[14:15], s[12:13], 3
	s_mov_b64 s[16:17], 0
	v_mov_b32_e32 v12, 0
	s_mov_b64 s[18:19], s[8:9]
.LBB2_31:                               ;   Parent Loop BB2_28 Depth=1
                                        ; =>  This Inner Loop Header: Depth=2
	global_load_ubyte v5, v29, s[18:19]
	s_waitcnt vmcnt(0)
	v_and_b32_e32 v28, 0xffff, v5
	v_lshlrev_b64 v[5:6], s16, v[28:29]
	s_add_u32 s16, s16, 8
	s_addc_u32 s17, s17, 0
	s_add_u32 s18, s18, 1
	s_addc_u32 s19, s19, 0
	v_or_b32_e32 v11, v5, v11
	s_cmp_lg_u32 s14, s16
	v_or_b32_e32 v12, v6, v12
	s_cbranch_scc1 .LBB2_31
.LBB2_32:                               ;   in Loop: Header=BB2_28 Depth=1
	s_mov_b32 s18, 0
	s_andn2_b64 vcc, exec, s[4:5]
	s_mov_b64 s[4:5], s[8:9]
	s_cbranch_vccz .LBB2_34
	s_branch .LBB2_35
.LBB2_33:                               ;   in Loop: Header=BB2_28 Depth=1
                                        ; implicit-def: $vgpr11_vgpr12
                                        ; implicit-def: $sgpr18
	s_mov_b64 s[4:5], s[8:9]
.LBB2_34:                               ;   in Loop: Header=BB2_28 Depth=1
	global_load_dwordx2 v[11:12], v29, s[8:9]
	s_add_i32 s18, s12, -8
	s_add_u32 s4, s8, 8
	s_addc_u32 s5, s9, 0
.LBB2_35:                               ;   in Loop: Header=BB2_28 Depth=1
	s_cmp_gt_u32 s18, 7
	s_cbranch_scc1 .LBB2_39
; %bb.36:                               ;   in Loop: Header=BB2_28 Depth=1
	s_cmp_eq_u32 s18, 0
	s_cbranch_scc1 .LBB2_40
; %bb.37:                               ;   in Loop: Header=BB2_28 Depth=1
	v_mov_b32_e32 v13, 0
	s_mov_b64 s[14:15], 0
	v_mov_b32_e32 v14, 0
	s_mov_b64 s[16:17], 0
.LBB2_38:                               ;   Parent Loop BB2_28 Depth=1
                                        ; =>  This Inner Loop Header: Depth=2
	s_add_u32 s20, s4, s16
	s_addc_u32 s21, s5, s17
	global_load_ubyte v5, v29, s[20:21]
	s_add_u32 s16, s16, 1
	s_addc_u32 s17, s17, 0
	s_waitcnt vmcnt(0)
	v_and_b32_e32 v28, 0xffff, v5
	v_lshlrev_b64 v[5:6], s14, v[28:29]
	s_add_u32 s14, s14, 8
	s_addc_u32 s15, s15, 0
	v_or_b32_e32 v13, v5, v13
	s_cmp_lg_u32 s18, s16
	v_or_b32_e32 v14, v6, v14
	s_cbranch_scc1 .LBB2_38
	s_branch .LBB2_41
.LBB2_39:                               ;   in Loop: Header=BB2_28 Depth=1
                                        ; implicit-def: $vgpr13_vgpr14
                                        ; implicit-def: $sgpr19
	s_branch .LBB2_42
.LBB2_40:                               ;   in Loop: Header=BB2_28 Depth=1
	v_mov_b32_e32 v13, 0
	v_mov_b32_e32 v14, 0
.LBB2_41:                               ;   in Loop: Header=BB2_28 Depth=1
	s_mov_b32 s19, 0
	s_cbranch_execnz .LBB2_43
.LBB2_42:                               ;   in Loop: Header=BB2_28 Depth=1
	global_load_dwordx2 v[13:14], v29, s[4:5]
	s_add_i32 s19, s18, -8
	s_add_u32 s4, s4, 8
	s_addc_u32 s5, s5, 0
.LBB2_43:                               ;   in Loop: Header=BB2_28 Depth=1
	s_cmp_gt_u32 s19, 7
	s_cbranch_scc1 .LBB2_47
; %bb.44:                               ;   in Loop: Header=BB2_28 Depth=1
	s_cmp_eq_u32 s19, 0
	s_cbranch_scc1 .LBB2_48
; %bb.45:                               ;   in Loop: Header=BB2_28 Depth=1
	v_mov_b32_e32 v15, 0
	s_mov_b64 s[14:15], 0
	v_mov_b32_e32 v16, 0
	s_mov_b64 s[16:17], 0
.LBB2_46:                               ;   Parent Loop BB2_28 Depth=1
                                        ; =>  This Inner Loop Header: Depth=2
	s_add_u32 s20, s4, s16
	s_addc_u32 s21, s5, s17
	global_load_ubyte v5, v29, s[20:21]
	s_add_u32 s16, s16, 1
	s_addc_u32 s17, s17, 0
	s_waitcnt vmcnt(0)
	v_and_b32_e32 v28, 0xffff, v5
	v_lshlrev_b64 v[5:6], s14, v[28:29]
	s_add_u32 s14, s14, 8
	s_addc_u32 s15, s15, 0
	v_or_b32_e32 v15, v5, v15
	s_cmp_lg_u32 s19, s16
	v_or_b32_e32 v16, v6, v16
	s_cbranch_scc1 .LBB2_46
	s_branch .LBB2_49
.LBB2_47:                               ;   in Loop: Header=BB2_28 Depth=1
                                        ; implicit-def: $sgpr18
	s_branch .LBB2_50
.LBB2_48:                               ;   in Loop: Header=BB2_28 Depth=1
	v_mov_b32_e32 v15, 0
	v_mov_b32_e32 v16, 0
.LBB2_49:                               ;   in Loop: Header=BB2_28 Depth=1
	s_mov_b32 s18, 0
	s_cbranch_execnz .LBB2_51
.LBB2_50:                               ;   in Loop: Header=BB2_28 Depth=1
	global_load_dwordx2 v[15:16], v29, s[4:5]
	s_add_i32 s18, s19, -8
	s_add_u32 s4, s4, 8
	s_addc_u32 s5, s5, 0
.LBB2_51:                               ;   in Loop: Header=BB2_28 Depth=1
	s_cmp_gt_u32 s18, 7
	s_cbranch_scc1 .LBB2_55
; %bb.52:                               ;   in Loop: Header=BB2_28 Depth=1
	s_cmp_eq_u32 s18, 0
	s_cbranch_scc1 .LBB2_56
; %bb.53:                               ;   in Loop: Header=BB2_28 Depth=1
	v_mov_b32_e32 v17, 0
	s_mov_b64 s[14:15], 0
	v_mov_b32_e32 v18, 0
	s_mov_b64 s[16:17], 0
.LBB2_54:                               ;   Parent Loop BB2_28 Depth=1
                                        ; =>  This Inner Loop Header: Depth=2
	s_add_u32 s20, s4, s16
	s_addc_u32 s21, s5, s17
	global_load_ubyte v5, v29, s[20:21]
	s_add_u32 s16, s16, 1
	s_addc_u32 s17, s17, 0
	s_waitcnt vmcnt(0)
	v_and_b32_e32 v28, 0xffff, v5
	v_lshlrev_b64 v[5:6], s14, v[28:29]
	s_add_u32 s14, s14, 8
	s_addc_u32 s15, s15, 0
	v_or_b32_e32 v17, v5, v17
	s_cmp_lg_u32 s18, s16
	v_or_b32_e32 v18, v6, v18
	s_cbranch_scc1 .LBB2_54
	s_branch .LBB2_57
.LBB2_55:                               ;   in Loop: Header=BB2_28 Depth=1
                                        ; implicit-def: $vgpr17_vgpr18
                                        ; implicit-def: $sgpr19
	s_branch .LBB2_58
.LBB2_56:                               ;   in Loop: Header=BB2_28 Depth=1
	v_mov_b32_e32 v17, 0
	v_mov_b32_e32 v18, 0
.LBB2_57:                               ;   in Loop: Header=BB2_28 Depth=1
	s_mov_b32 s19, 0
	s_cbranch_execnz .LBB2_59
.LBB2_58:                               ;   in Loop: Header=BB2_28 Depth=1
	global_load_dwordx2 v[17:18], v29, s[4:5]
	s_add_i32 s19, s18, -8
	s_add_u32 s4, s4, 8
	s_addc_u32 s5, s5, 0
.LBB2_59:                               ;   in Loop: Header=BB2_28 Depth=1
	s_cmp_gt_u32 s19, 7
	s_cbranch_scc1 .LBB2_63
; %bb.60:                               ;   in Loop: Header=BB2_28 Depth=1
	s_cmp_eq_u32 s19, 0
	s_cbranch_scc1 .LBB2_64
; %bb.61:                               ;   in Loop: Header=BB2_28 Depth=1
	v_mov_b32_e32 v19, 0
	s_mov_b64 s[14:15], 0
	v_mov_b32_e32 v20, 0
	s_mov_b64 s[16:17], 0
.LBB2_62:                               ;   Parent Loop BB2_28 Depth=1
                                        ; =>  This Inner Loop Header: Depth=2
	s_add_u32 s20, s4, s16
	s_addc_u32 s21, s5, s17
	global_load_ubyte v5, v29, s[20:21]
	s_add_u32 s16, s16, 1
	s_addc_u32 s17, s17, 0
	s_waitcnt vmcnt(0)
	v_and_b32_e32 v28, 0xffff, v5
	v_lshlrev_b64 v[5:6], s14, v[28:29]
	s_add_u32 s14, s14, 8
	s_addc_u32 s15, s15, 0
	v_or_b32_e32 v19, v5, v19
	s_cmp_lg_u32 s19, s16
	v_or_b32_e32 v20, v6, v20
	s_cbranch_scc1 .LBB2_62
	s_branch .LBB2_65
.LBB2_63:                               ;   in Loop: Header=BB2_28 Depth=1
                                        ; implicit-def: $sgpr18
	s_branch .LBB2_66
.LBB2_64:                               ;   in Loop: Header=BB2_28 Depth=1
	v_mov_b32_e32 v19, 0
	v_mov_b32_e32 v20, 0
.LBB2_65:                               ;   in Loop: Header=BB2_28 Depth=1
	s_mov_b32 s18, 0
	s_cbranch_execnz .LBB2_67
.LBB2_66:                               ;   in Loop: Header=BB2_28 Depth=1
	global_load_dwordx2 v[19:20], v29, s[4:5]
	s_add_i32 s18, s19, -8
	s_add_u32 s4, s4, 8
	s_addc_u32 s5, s5, 0
.LBB2_67:                               ;   in Loop: Header=BB2_28 Depth=1
	s_cmp_gt_u32 s18, 7
	s_cbranch_scc1 .LBB2_71
; %bb.68:                               ;   in Loop: Header=BB2_28 Depth=1
	s_cmp_eq_u32 s18, 0
	s_cbranch_scc1 .LBB2_72
; %bb.69:                               ;   in Loop: Header=BB2_28 Depth=1
	v_mov_b32_e32 v21, 0
	s_mov_b64 s[14:15], 0
	v_mov_b32_e32 v22, 0
	s_mov_b64 s[16:17], 0
.LBB2_70:                               ;   Parent Loop BB2_28 Depth=1
                                        ; =>  This Inner Loop Header: Depth=2
	s_add_u32 s20, s4, s16
	s_addc_u32 s21, s5, s17
	global_load_ubyte v5, v29, s[20:21]
	s_add_u32 s16, s16, 1
	s_addc_u32 s17, s17, 0
	s_waitcnt vmcnt(0)
	v_and_b32_e32 v28, 0xffff, v5
	v_lshlrev_b64 v[5:6], s14, v[28:29]
	s_add_u32 s14, s14, 8
	s_addc_u32 s15, s15, 0
	v_or_b32_e32 v21, v5, v21
	s_cmp_lg_u32 s18, s16
	v_or_b32_e32 v22, v6, v22
	s_cbranch_scc1 .LBB2_70
	s_branch .LBB2_73
.LBB2_71:                               ;   in Loop: Header=BB2_28 Depth=1
                                        ; implicit-def: $vgpr21_vgpr22
                                        ; implicit-def: $sgpr19
	s_branch .LBB2_74
.LBB2_72:                               ;   in Loop: Header=BB2_28 Depth=1
	v_mov_b32_e32 v21, 0
	v_mov_b32_e32 v22, 0
.LBB2_73:                               ;   in Loop: Header=BB2_28 Depth=1
	s_mov_b32 s19, 0
	s_cbranch_execnz .LBB2_75
.LBB2_74:                               ;   in Loop: Header=BB2_28 Depth=1
	global_load_dwordx2 v[21:22], v29, s[4:5]
	s_add_i32 s19, s18, -8
	s_add_u32 s4, s4, 8
	s_addc_u32 s5, s5, 0
.LBB2_75:                               ;   in Loop: Header=BB2_28 Depth=1
	s_cmp_gt_u32 s19, 7
	s_cbranch_scc1 .LBB2_79
; %bb.76:                               ;   in Loop: Header=BB2_28 Depth=1
	s_cmp_eq_u32 s19, 0
	s_cbranch_scc1 .LBB2_80
; %bb.77:                               ;   in Loop: Header=BB2_28 Depth=1
	v_mov_b32_e32 v23, 0
	s_mov_b64 s[14:15], 0
	v_mov_b32_e32 v24, 0
	s_mov_b64 s[16:17], s[4:5]
.LBB2_78:                               ;   Parent Loop BB2_28 Depth=1
                                        ; =>  This Inner Loop Header: Depth=2
	global_load_ubyte v5, v29, s[16:17]
	s_add_i32 s19, s19, -1
	s_waitcnt vmcnt(0)
	v_and_b32_e32 v28, 0xffff, v5
	v_lshlrev_b64 v[5:6], s14, v[28:29]
	s_add_u32 s14, s14, 8
	s_addc_u32 s15, s15, 0
	s_add_u32 s16, s16, 1
	s_addc_u32 s17, s17, 0
	v_or_b32_e32 v23, v5, v23
	s_cmp_lg_u32 s19, 0
	v_or_b32_e32 v24, v6, v24
	s_cbranch_scc1 .LBB2_78
	s_branch .LBB2_81
.LBB2_79:                               ;   in Loop: Header=BB2_28 Depth=1
	s_branch .LBB2_82
.LBB2_80:                               ;   in Loop: Header=BB2_28 Depth=1
	v_mov_b32_e32 v23, 0
	v_mov_b32_e32 v24, 0
.LBB2_81:                               ;   in Loop: Header=BB2_28 Depth=1
	s_cbranch_execnz .LBB2_83
.LBB2_82:                               ;   in Loop: Header=BB2_28 Depth=1
	global_load_dwordx2 v[23:24], v29, s[4:5]
.LBB2_83:                               ;   in Loop: Header=BB2_28 Depth=1
	v_readfirstlane_b32 s4, v33
	s_waitcnt vmcnt(0)
	v_mov_b32_e32 v5, 0
	v_mov_b32_e32 v6, 0
	v_cmp_eq_u32_e64 s[4:5], s4, v33
	s_and_saveexec_b64 s[14:15], s[4:5]
	s_cbranch_execz .LBB2_89
; %bb.84:                               ;   in Loop: Header=BB2_28 Depth=1
	global_load_dwordx2 v[27:28], v29, s[6:7] offset:24 glc
	s_waitcnt vmcnt(0)
	buffer_wbinvl1_vol
	global_load_dwordx2 v[5:6], v29, s[6:7] offset:40
	global_load_dwordx2 v[9:10], v29, s[6:7]
	s_waitcnt vmcnt(1)
	v_and_b32_e32 v5, v5, v27
	v_and_b32_e32 v6, v6, v28
	v_mul_lo_u32 v6, v6, 24
	v_mul_hi_u32 v25, v5, 24
	v_mul_lo_u32 v5, v5, 24
	v_add_u32_e32 v6, v25, v6
	s_waitcnt vmcnt(0)
	v_add_co_u32_e32 v5, vcc, v9, v5
	v_addc_co_u32_e32 v6, vcc, v10, v6, vcc
	global_load_dwordx2 v[25:26], v[5:6], off glc
	s_waitcnt vmcnt(0)
	global_atomic_cmpswap_x2 v[5:6], v29, v[25:28], s[6:7] offset:24 glc
	s_waitcnt vmcnt(0)
	buffer_wbinvl1_vol
	v_cmp_ne_u64_e32 vcc, v[5:6], v[27:28]
	s_and_saveexec_b64 s[16:17], vcc
	s_cbranch_execz .LBB2_88
; %bb.85:                               ;   in Loop: Header=BB2_28 Depth=1
	s_mov_b64 s[18:19], 0
.LBB2_86:                               ;   Parent Loop BB2_28 Depth=1
                                        ; =>  This Inner Loop Header: Depth=2
	s_sleep 1
	global_load_dwordx2 v[9:10], v29, s[6:7] offset:40
	global_load_dwordx2 v[25:26], v29, s[6:7]
	v_mov_b32_e32 v28, v6
	v_mov_b32_e32 v27, v5
	s_waitcnt vmcnt(1)
	v_and_b32_e32 v5, v9, v27
	s_waitcnt vmcnt(0)
	v_mad_u64_u32 v[5:6], s[20:21], v5, 24, v[25:26]
	v_and_b32_e32 v9, v10, v28
	v_mad_u64_u32 v[9:10], s[20:21], v9, 24, v[6:7]
	v_mov_b32_e32 v6, v9
	global_load_dwordx2 v[25:26], v[5:6], off glc
	s_waitcnt vmcnt(0)
	global_atomic_cmpswap_x2 v[5:6], v29, v[25:28], s[6:7] offset:24 glc
	s_waitcnt vmcnt(0)
	buffer_wbinvl1_vol
	v_cmp_eq_u64_e32 vcc, v[5:6], v[27:28]
	s_or_b64 s[18:19], vcc, s[18:19]
	s_andn2_b64 exec, exec, s[18:19]
	s_cbranch_execnz .LBB2_86
; %bb.87:                               ;   in Loop: Header=BB2_28 Depth=1
	s_or_b64 exec, exec, s[18:19]
.LBB2_88:                               ;   in Loop: Header=BB2_28 Depth=1
	s_or_b64 exec, exec, s[16:17]
.LBB2_89:                               ;   in Loop: Header=BB2_28 Depth=1
	s_or_b64 exec, exec, s[14:15]
	global_load_dwordx2 v[9:10], v29, s[6:7] offset:40
	global_load_dwordx4 v[25:28], v29, s[6:7]
	v_readfirstlane_b32 s14, v5
	v_readfirstlane_b32 s15, v6
	s_mov_b64 s[16:17], exec
	s_waitcnt vmcnt(1)
	v_readfirstlane_b32 s18, v9
	v_readfirstlane_b32 s19, v10
	s_and_b64 s[18:19], s[14:15], s[18:19]
	s_mul_i32 s20, s19, 24
	s_mul_hi_u32 s21, s18, 24
	s_mul_i32 s22, s18, 24
	s_add_i32 s20, s21, s20
	v_mov_b32_e32 v5, s20
	s_waitcnt vmcnt(0)
	v_add_co_u32_e32 v30, vcc, s22, v25
	v_addc_co_u32_e32 v31, vcc, v26, v5, vcc
	s_and_saveexec_b64 s[20:21], s[4:5]
	s_cbranch_execz .LBB2_91
; %bb.90:                               ;   in Loop: Header=BB2_28 Depth=1
	v_mov_b32_e32 v5, s16
	v_mov_b32_e32 v6, s17
	global_store_dwordx4 v[30:31], v[5:8], off offset:8
.LBB2_91:                               ;   in Loop: Header=BB2_28 Depth=1
	s_or_b64 exec, exec, s[20:21]
	s_lshl_b64 s[16:17], s[18:19], 12
	v_mov_b32_e32 v5, s17
	v_add_co_u32_e32 v27, vcc, s16, v27
	v_addc_co_u32_e32 v35, vcc, v28, v5, vcc
	v_cmp_gt_u64_e64 vcc, s[10:11], 56
	v_or_b32_e32 v6, v3, v34
	s_lshl_b32 s16, s12, 2
	v_cndmask_b32_e32 v3, v6, v3, vcc
	s_add_i32 s16, s16, 28
	v_or_b32_e32 v5, 0, v4
	s_and_b32 s16, s16, 0x1e0
	v_and_b32_e32 v3, 0xffffff1f, v3
	v_cndmask_b32_e32 v10, v5, v4, vcc
	v_or_b32_e32 v9, s16, v3
	v_readfirstlane_b32 s16, v27
	v_readfirstlane_b32 s17, v35
	s_nop 4
	global_store_dwordx4 v32, v[9:12], s[16:17]
	global_store_dwordx4 v32, v[13:16], s[16:17] offset:16
	global_store_dwordx4 v32, v[17:20], s[16:17] offset:32
	global_store_dwordx4 v32, v[21:24], s[16:17] offset:48
	s_and_saveexec_b64 s[16:17], s[4:5]
	s_cbranch_execz .LBB2_99
; %bb.92:                               ;   in Loop: Header=BB2_28 Depth=1
	global_load_dwordx2 v[13:14], v29, s[6:7] offset:32 glc
	global_load_dwordx2 v[3:4], v29, s[6:7] offset:40
	v_mov_b32_e32 v11, s14
	v_mov_b32_e32 v12, s15
	s_waitcnt vmcnt(0)
	v_readfirstlane_b32 s18, v3
	v_readfirstlane_b32 s19, v4
	s_and_b64 s[18:19], s[18:19], s[14:15]
	s_mul_i32 s19, s19, 24
	s_mul_hi_u32 s20, s18, 24
	s_mul_i32 s18, s18, 24
	s_add_i32 s19, s20, s19
	v_mov_b32_e32 v3, s19
	v_add_co_u32_e32 v9, vcc, s18, v25
	v_addc_co_u32_e32 v10, vcc, v26, v3, vcc
	global_store_dwordx2 v[9:10], v[13:14], off
	s_waitcnt vmcnt(0)
	global_atomic_cmpswap_x2 v[5:6], v29, v[11:14], s[6:7] offset:32 glc
	s_waitcnt vmcnt(0)
	v_cmp_ne_u64_e32 vcc, v[5:6], v[13:14]
	s_and_saveexec_b64 s[18:19], vcc
	s_cbranch_execz .LBB2_95
; %bb.93:                               ;   in Loop: Header=BB2_28 Depth=1
	s_mov_b64 s[20:21], 0
.LBB2_94:                               ;   Parent Loop BB2_28 Depth=1
                                        ; =>  This Inner Loop Header: Depth=2
	s_sleep 1
	global_store_dwordx2 v[9:10], v[5:6], off
	v_mov_b32_e32 v3, s14
	v_mov_b32_e32 v4, s15
	s_waitcnt vmcnt(0)
	global_atomic_cmpswap_x2 v[3:4], v29, v[3:6], s[6:7] offset:32 glc
	s_waitcnt vmcnt(0)
	v_cmp_eq_u64_e32 vcc, v[3:4], v[5:6]
	v_mov_b32_e32 v6, v4
	s_or_b64 s[20:21], vcc, s[20:21]
	v_mov_b32_e32 v5, v3
	s_andn2_b64 exec, exec, s[20:21]
	s_cbranch_execnz .LBB2_94
.LBB2_95:                               ;   in Loop: Header=BB2_28 Depth=1
	s_or_b64 exec, exec, s[18:19]
	global_load_dwordx2 v[3:4], v29, s[6:7] offset:16
	s_mov_b64 s[20:21], exec
	v_mbcnt_lo_u32_b32 v5, s20, 0
	v_mbcnt_hi_u32_b32 v5, s21, v5
	v_cmp_eq_u32_e32 vcc, 0, v5
	s_and_saveexec_b64 s[18:19], vcc
	s_cbranch_execz .LBB2_97
; %bb.96:                               ;   in Loop: Header=BB2_28 Depth=1
	s_bcnt1_i32_b64 s20, s[20:21]
	v_mov_b32_e32 v28, s20
	s_waitcnt vmcnt(0)
	global_atomic_add_x2 v[3:4], v[28:29], off offset:8
.LBB2_97:                               ;   in Loop: Header=BB2_28 Depth=1
	s_or_b64 exec, exec, s[18:19]
	s_waitcnt vmcnt(0)
	global_load_dwordx2 v[5:6], v[3:4], off offset:16
	s_waitcnt vmcnt(0)
	v_cmp_eq_u64_e32 vcc, 0, v[5:6]
	s_cbranch_vccnz .LBB2_99
; %bb.98:                               ;   in Loop: Header=BB2_28 Depth=1
	global_load_dword v28, v[3:4], off offset:24
	s_waitcnt vmcnt(0)
	v_and_b32_e32 v3, 0xffffff, v28
	v_readfirstlane_b32 m0, v3
	global_store_dwordx2 v[5:6], v[28:29], off
	s_sendmsg sendmsg(MSG_INTERRUPT)
.LBB2_99:                               ;   in Loop: Header=BB2_28 Depth=1
	s_or_b64 exec, exec, s[16:17]
	v_add_co_u32_e32 v3, vcc, v27, v32
	v_addc_co_u32_e32 v4, vcc, 0, v35, vcc
	s_branch .LBB2_103
.LBB2_100:                              ;   in Loop: Header=BB2_103 Depth=2
	s_or_b64 exec, exec, s[16:17]
	v_readfirstlane_b32 s16, v5
	s_cmp_eq_u32 s16, 0
	s_cbranch_scc1 .LBB2_102
; %bb.101:                              ;   in Loop: Header=BB2_103 Depth=2
	s_sleep 1
	s_cbranch_execnz .LBB2_103
	s_branch .LBB2_105
.LBB2_102:                              ;   in Loop: Header=BB2_28 Depth=1
	s_branch .LBB2_105
.LBB2_103:                              ;   Parent Loop BB2_28 Depth=1
                                        ; =>  This Inner Loop Header: Depth=2
	v_mov_b32_e32 v5, 1
	s_and_saveexec_b64 s[16:17], s[4:5]
	s_cbranch_execz .LBB2_100
; %bb.104:                              ;   in Loop: Header=BB2_103 Depth=2
	global_load_dword v5, v[30:31], off offset:20 glc
	s_waitcnt vmcnt(0)
	buffer_wbinvl1_vol
	v_and_b32_e32 v5, 1, v5
	s_branch .LBB2_100
.LBB2_105:                              ;   in Loop: Header=BB2_28 Depth=1
	global_load_dwordx4 v[3:6], v[3:4], off
	s_and_saveexec_b64 s[16:17], s[4:5]
	s_cbranch_execz .LBB2_27
; %bb.106:                              ;   in Loop: Header=BB2_28 Depth=1
	global_load_dwordx2 v[5:6], v29, s[6:7] offset:40
	global_load_dwordx2 v[13:14], v29, s[6:7] offset:24 glc
	global_load_dwordx2 v[15:16], v29, s[6:7]
	v_mov_b32_e32 v10, s15
	s_waitcnt vmcnt(2)
	v_add_co_u32_e32 v11, vcc, 1, v5
	v_addc_co_u32_e32 v12, vcc, 0, v6, vcc
	v_add_co_u32_e32 v9, vcc, s14, v11
	v_addc_co_u32_e32 v10, vcc, v12, v10, vcc
	v_cmp_eq_u64_e32 vcc, 0, v[9:10]
	v_cndmask_b32_e32 v10, v10, v12, vcc
	v_cndmask_b32_e32 v9, v9, v11, vcc
	v_and_b32_e32 v6, v10, v6
	v_and_b32_e32 v5, v9, v5
	v_mul_lo_u32 v6, v6, 24
	v_mul_hi_u32 v12, v5, 24
	v_mul_lo_u32 v5, v5, 24
	s_waitcnt vmcnt(1)
	v_mov_b32_e32 v11, v13
	v_add_u32_e32 v6, v12, v6
	s_waitcnt vmcnt(0)
	v_add_co_u32_e32 v5, vcc, v15, v5
	v_addc_co_u32_e32 v6, vcc, v16, v6, vcc
	global_store_dwordx2 v[5:6], v[13:14], off
	v_mov_b32_e32 v12, v14
	s_waitcnt vmcnt(0)
	global_atomic_cmpswap_x2 v[11:12], v29, v[9:12], s[6:7] offset:24 glc
	s_waitcnt vmcnt(0)
	v_cmp_ne_u64_e32 vcc, v[11:12], v[13:14]
	s_and_b64 exec, exec, vcc
	s_cbranch_execz .LBB2_27
; %bb.107:                              ;   in Loop: Header=BB2_28 Depth=1
	s_mov_b64 s[4:5], 0
.LBB2_108:                              ;   Parent Loop BB2_28 Depth=1
                                        ; =>  This Inner Loop Header: Depth=2
	s_sleep 1
	global_store_dwordx2 v[5:6], v[11:12], off
	s_waitcnt vmcnt(0)
	global_atomic_cmpswap_x2 v[13:14], v29, v[9:12], s[6:7] offset:24 glc
	s_waitcnt vmcnt(0)
	v_cmp_eq_u64_e32 vcc, v[13:14], v[11:12]
	v_mov_b32_e32 v11, v13
	s_or_b64 s[4:5], vcc, s[4:5]
	v_mov_b32_e32 v12, v14
	s_andn2_b64 exec, exec, s[4:5]
	s_cbranch_execnz .LBB2_108
	s_branch .LBB2_27
.LBB2_109:
	s_branch .LBB2_137
.LBB2_110:
                                        ; implicit-def: $vgpr3_vgpr4
	s_cbranch_execz .LBB2_137
; %bb.111:
	v_readfirstlane_b32 s4, v33
	v_mov_b32_e32 v9, 0
	v_mov_b32_e32 v10, 0
	v_cmp_eq_u32_e64 s[4:5], s4, v33
	s_and_saveexec_b64 s[8:9], s[4:5]
	s_cbranch_execz .LBB2_117
; %bb.112:
	s_waitcnt vmcnt(0)
	v_mov_b32_e32 v3, 0
	global_load_dwordx2 v[6:7], v3, s[6:7] offset:24 glc
	s_waitcnt vmcnt(0)
	buffer_wbinvl1_vol
	global_load_dwordx2 v[4:5], v3, s[6:7] offset:40
	global_load_dwordx2 v[8:9], v3, s[6:7]
	s_waitcnt vmcnt(1)
	v_and_b32_e32 v4, v4, v6
	v_and_b32_e32 v5, v5, v7
	v_mul_lo_u32 v5, v5, 24
	v_mul_hi_u32 v10, v4, 24
	v_mul_lo_u32 v4, v4, 24
	v_add_u32_e32 v5, v10, v5
	s_waitcnt vmcnt(0)
	v_add_co_u32_e32 v4, vcc, v8, v4
	v_addc_co_u32_e32 v5, vcc, v9, v5, vcc
	global_load_dwordx2 v[4:5], v[4:5], off glc
	s_waitcnt vmcnt(0)
	global_atomic_cmpswap_x2 v[9:10], v3, v[4:7], s[6:7] offset:24 glc
	s_waitcnt vmcnt(0)
	buffer_wbinvl1_vol
	v_cmp_ne_u64_e32 vcc, v[9:10], v[6:7]
	s_and_saveexec_b64 s[10:11], vcc
	s_cbranch_execz .LBB2_116
; %bb.113:
	s_mov_b64 s[12:13], 0
.LBB2_114:                              ; =>This Inner Loop Header: Depth=1
	s_sleep 1
	global_load_dwordx2 v[4:5], v3, s[6:7] offset:40
	global_load_dwordx2 v[11:12], v3, s[6:7]
	v_mov_b32_e32 v6, v9
	v_mov_b32_e32 v7, v10
	s_waitcnt vmcnt(1)
	v_and_b32_e32 v4, v4, v6
	s_waitcnt vmcnt(0)
	v_mad_u64_u32 v[8:9], s[14:15], v4, 24, v[11:12]
	v_and_b32_e32 v5, v5, v7
	v_mov_b32_e32 v4, v9
	v_mad_u64_u32 v[4:5], s[14:15], v5, 24, v[4:5]
	v_mov_b32_e32 v9, v4
	global_load_dwordx2 v[4:5], v[8:9], off glc
	s_waitcnt vmcnt(0)
	global_atomic_cmpswap_x2 v[9:10], v3, v[4:7], s[6:7] offset:24 glc
	s_waitcnt vmcnt(0)
	buffer_wbinvl1_vol
	v_cmp_eq_u64_e32 vcc, v[9:10], v[6:7]
	s_or_b64 s[12:13], vcc, s[12:13]
	s_andn2_b64 exec, exec, s[12:13]
	s_cbranch_execnz .LBB2_114
; %bb.115:
	s_or_b64 exec, exec, s[12:13]
.LBB2_116:
	s_or_b64 exec, exec, s[10:11]
.LBB2_117:
	s_or_b64 exec, exec, s[8:9]
	s_waitcnt vmcnt(0)
	v_mov_b32_e32 v3, 0
	global_load_dwordx2 v[11:12], v3, s[6:7] offset:40
	global_load_dwordx4 v[5:8], v3, s[6:7]
	v_readfirstlane_b32 s8, v9
	v_readfirstlane_b32 s9, v10
	s_mov_b64 s[10:11], exec
	s_waitcnt vmcnt(1)
	v_readfirstlane_b32 s12, v11
	v_readfirstlane_b32 s13, v12
	s_and_b64 s[12:13], s[8:9], s[12:13]
	s_mul_i32 s14, s13, 24
	s_mul_hi_u32 s15, s12, 24
	s_mul_i32 s16, s12, 24
	s_add_i32 s14, s15, s14
	v_mov_b32_e32 v4, s14
	s_waitcnt vmcnt(0)
	v_add_co_u32_e32 v9, vcc, s16, v5
	v_addc_co_u32_e32 v10, vcc, v6, v4, vcc
	s_and_saveexec_b64 s[14:15], s[4:5]
	s_cbranch_execz .LBB2_119
; %bb.118:
	v_mov_b32_e32 v12, s11
	v_mov_b32_e32 v11, s10
	;; [unrolled: 1-line block ×4, first 2 shown]
	global_store_dwordx4 v[9:10], v[11:14], off offset:8
.LBB2_119:
	s_or_b64 exec, exec, s[14:15]
	s_lshl_b64 s[10:11], s[12:13], 12
	v_mov_b32_e32 v4, s11
	v_add_co_u32_e32 v11, vcc, s10, v7
	v_addc_co_u32_e32 v12, vcc, v8, v4, vcc
	s_movk_i32 s10, 0xff1f
	v_and_or_b32 v1, v1, s10, 32
	s_mov_b32 s12, 0
	v_mov_b32_e32 v4, v3
	v_readfirstlane_b32 s10, v11
	v_readfirstlane_b32 s11, v12
	v_add_co_u32_e32 v7, vcc, v11, v32
	s_mov_b32 s13, s12
	s_mov_b32 s14, s12
	;; [unrolled: 1-line block ×3, first 2 shown]
	s_nop 0
	global_store_dwordx4 v32, v[1:4], s[10:11]
	v_addc_co_u32_e32 v8, vcc, 0, v12, vcc
	v_mov_b32_e32 v1, s12
	v_mov_b32_e32 v2, s13
	v_mov_b32_e32 v3, s14
	v_mov_b32_e32 v4, s15
	global_store_dwordx4 v32, v[1:4], s[10:11] offset:16
	global_store_dwordx4 v32, v[1:4], s[10:11] offset:32
	;; [unrolled: 1-line block ×3, first 2 shown]
	s_and_saveexec_b64 s[10:11], s[4:5]
	s_cbranch_execz .LBB2_127
; %bb.120:
	v_mov_b32_e32 v11, 0
	global_load_dwordx2 v[14:15], v11, s[6:7] offset:32 glc
	global_load_dwordx2 v[1:2], v11, s[6:7] offset:40
	v_mov_b32_e32 v12, s8
	v_mov_b32_e32 v13, s9
	s_waitcnt vmcnt(0)
	v_readfirstlane_b32 s12, v1
	v_readfirstlane_b32 s13, v2
	s_and_b64 s[12:13], s[12:13], s[8:9]
	s_mul_i32 s13, s13, 24
	s_mul_hi_u32 s14, s12, 24
	s_mul_i32 s12, s12, 24
	s_add_i32 s13, s14, s13
	v_mov_b32_e32 v1, s13
	v_add_co_u32_e32 v5, vcc, s12, v5
	v_addc_co_u32_e32 v6, vcc, v6, v1, vcc
	global_store_dwordx2 v[5:6], v[14:15], off
	s_waitcnt vmcnt(0)
	global_atomic_cmpswap_x2 v[3:4], v11, v[12:15], s[6:7] offset:32 glc
	s_waitcnt vmcnt(0)
	v_cmp_ne_u64_e32 vcc, v[3:4], v[14:15]
	s_and_saveexec_b64 s[12:13], vcc
	s_cbranch_execz .LBB2_123
; %bb.121:
	s_mov_b64 s[14:15], 0
.LBB2_122:                              ; =>This Inner Loop Header: Depth=1
	s_sleep 1
	global_store_dwordx2 v[5:6], v[3:4], off
	v_mov_b32_e32 v1, s8
	v_mov_b32_e32 v2, s9
	s_waitcnt vmcnt(0)
	global_atomic_cmpswap_x2 v[1:2], v11, v[1:4], s[6:7] offset:32 glc
	s_waitcnt vmcnt(0)
	v_cmp_eq_u64_e32 vcc, v[1:2], v[3:4]
	v_mov_b32_e32 v4, v2
	s_or_b64 s[14:15], vcc, s[14:15]
	v_mov_b32_e32 v3, v1
	s_andn2_b64 exec, exec, s[14:15]
	s_cbranch_execnz .LBB2_122
.LBB2_123:
	s_or_b64 exec, exec, s[12:13]
	v_mov_b32_e32 v4, 0
	global_load_dwordx2 v[1:2], v4, s[6:7] offset:16
	s_mov_b64 s[12:13], exec
	v_mbcnt_lo_u32_b32 v3, s12, 0
	v_mbcnt_hi_u32_b32 v3, s13, v3
	v_cmp_eq_u32_e32 vcc, 0, v3
	s_and_saveexec_b64 s[14:15], vcc
	s_cbranch_execz .LBB2_125
; %bb.124:
	s_bcnt1_i32_b64 s12, s[12:13]
	v_mov_b32_e32 v3, s12
	s_waitcnt vmcnt(0)
	global_atomic_add_x2 v[1:2], v[3:4], off offset:8
.LBB2_125:
	s_or_b64 exec, exec, s[14:15]
	s_waitcnt vmcnt(0)
	global_load_dwordx2 v[3:4], v[1:2], off offset:16
	s_waitcnt vmcnt(0)
	v_cmp_eq_u64_e32 vcc, 0, v[3:4]
	s_cbranch_vccnz .LBB2_127
; %bb.126:
	global_load_dword v1, v[1:2], off offset:24
	v_mov_b32_e32 v2, 0
	s_waitcnt vmcnt(0)
	global_store_dwordx2 v[3:4], v[1:2], off
	v_and_b32_e32 v1, 0xffffff, v1
	v_readfirstlane_b32 m0, v1
	s_sendmsg sendmsg(MSG_INTERRUPT)
.LBB2_127:
	s_or_b64 exec, exec, s[10:11]
	s_branch .LBB2_131
.LBB2_128:                              ;   in Loop: Header=BB2_131 Depth=1
	s_or_b64 exec, exec, s[10:11]
	v_readfirstlane_b32 s10, v1
	s_cmp_eq_u32 s10, 0
	s_cbranch_scc1 .LBB2_130
; %bb.129:                              ;   in Loop: Header=BB2_131 Depth=1
	s_sleep 1
	s_cbranch_execnz .LBB2_131
	s_branch .LBB2_133
.LBB2_130:
	s_branch .LBB2_133
.LBB2_131:                              ; =>This Inner Loop Header: Depth=1
	v_mov_b32_e32 v1, 1
	s_and_saveexec_b64 s[10:11], s[4:5]
	s_cbranch_execz .LBB2_128
; %bb.132:                              ;   in Loop: Header=BB2_131 Depth=1
	global_load_dword v1, v[9:10], off offset:20 glc
	s_waitcnt vmcnt(0)
	buffer_wbinvl1_vol
	v_and_b32_e32 v1, 1, v1
	s_branch .LBB2_128
.LBB2_133:
	global_load_dwordx2 v[3:4], v[7:8], off
	s_and_saveexec_b64 s[10:11], s[4:5]
	s_cbranch_execz .LBB2_136
; %bb.134:
	v_mov_b32_e32 v9, 0
	global_load_dwordx2 v[1:2], v9, s[6:7] offset:40
	global_load_dwordx2 v[10:11], v9, s[6:7] offset:24 glc
	global_load_dwordx2 v[12:13], v9, s[6:7]
	v_mov_b32_e32 v6, s9
	s_mov_b64 s[4:5], 0
	s_waitcnt vmcnt(2)
	v_add_co_u32_e32 v7, vcc, 1, v1
	v_addc_co_u32_e32 v8, vcc, 0, v2, vcc
	v_add_co_u32_e32 v5, vcc, s8, v7
	v_addc_co_u32_e32 v6, vcc, v8, v6, vcc
	v_cmp_eq_u64_e32 vcc, 0, v[5:6]
	v_cndmask_b32_e32 v6, v6, v8, vcc
	v_cndmask_b32_e32 v5, v5, v7, vcc
	v_and_b32_e32 v2, v6, v2
	v_and_b32_e32 v1, v5, v1
	v_mul_lo_u32 v2, v2, 24
	v_mul_hi_u32 v8, v1, 24
	v_mul_lo_u32 v1, v1, 24
	s_waitcnt vmcnt(1)
	v_mov_b32_e32 v7, v10
	v_add_u32_e32 v2, v8, v2
	s_waitcnt vmcnt(0)
	v_add_co_u32_e32 v1, vcc, v12, v1
	v_addc_co_u32_e32 v2, vcc, v13, v2, vcc
	global_store_dwordx2 v[1:2], v[10:11], off
	v_mov_b32_e32 v8, v11
	s_waitcnt vmcnt(0)
	global_atomic_cmpswap_x2 v[7:8], v9, v[5:8], s[6:7] offset:24 glc
	s_waitcnt vmcnt(0)
	v_cmp_ne_u64_e32 vcc, v[7:8], v[10:11]
	s_and_b64 exec, exec, vcc
	s_cbranch_execz .LBB2_136
.LBB2_135:                              ; =>This Inner Loop Header: Depth=1
	s_sleep 1
	global_store_dwordx2 v[1:2], v[7:8], off
	s_waitcnt vmcnt(0)
	global_atomic_cmpswap_x2 v[10:11], v9, v[5:8], s[6:7] offset:24 glc
	s_waitcnt vmcnt(0)
	v_cmp_eq_u64_e32 vcc, v[10:11], v[7:8]
	v_mov_b32_e32 v7, v10
	s_or_b64 s[4:5], vcc, s[4:5]
	v_mov_b32_e32 v8, v11
	s_andn2_b64 exec, exec, s[4:5]
	s_cbranch_execnz .LBB2_135
.LBB2_136:
	s_or_b64 exec, exec, s[10:11]
.LBB2_137:
	v_readfirstlane_b32 s4, v33
	s_waitcnt vmcnt(0)
	v_mov_b32_e32 v1, 0
	v_mov_b32_e32 v2, 0
	v_cmp_eq_u32_e64 s[4:5], s4, v33
	s_and_saveexec_b64 s[8:9], s[4:5]
	s_cbranch_execz .LBB2_143
; %bb.138:
	v_mov_b32_e32 v5, 0
	global_load_dwordx2 v[8:9], v5, s[6:7] offset:24 glc
	s_waitcnt vmcnt(0)
	buffer_wbinvl1_vol
	global_load_dwordx2 v[1:2], v5, s[6:7] offset:40
	global_load_dwordx2 v[6:7], v5, s[6:7]
	s_waitcnt vmcnt(1)
	v_and_b32_e32 v1, v1, v8
	v_and_b32_e32 v2, v2, v9
	v_mul_lo_u32 v2, v2, 24
	v_mul_hi_u32 v10, v1, 24
	v_mul_lo_u32 v1, v1, 24
	v_add_u32_e32 v2, v10, v2
	s_waitcnt vmcnt(0)
	v_add_co_u32_e32 v1, vcc, v6, v1
	v_addc_co_u32_e32 v2, vcc, v7, v2, vcc
	global_load_dwordx2 v[6:7], v[1:2], off glc
	s_waitcnt vmcnt(0)
	global_atomic_cmpswap_x2 v[1:2], v5, v[6:9], s[6:7] offset:24 glc
	s_waitcnt vmcnt(0)
	buffer_wbinvl1_vol
	v_cmp_ne_u64_e32 vcc, v[1:2], v[8:9]
	s_and_saveexec_b64 s[10:11], vcc
	s_cbranch_execz .LBB2_142
; %bb.139:
	s_mov_b64 s[12:13], 0
.LBB2_140:                              ; =>This Inner Loop Header: Depth=1
	s_sleep 1
	global_load_dwordx2 v[6:7], v5, s[6:7] offset:40
	global_load_dwordx2 v[10:11], v5, s[6:7]
	v_mov_b32_e32 v9, v2
	v_mov_b32_e32 v8, v1
	s_waitcnt vmcnt(1)
	v_and_b32_e32 v1, v6, v8
	s_waitcnt vmcnt(0)
	v_mad_u64_u32 v[1:2], s[14:15], v1, 24, v[10:11]
	v_and_b32_e32 v6, v7, v9
	v_mad_u64_u32 v[6:7], s[14:15], v6, 24, v[2:3]
	v_mov_b32_e32 v2, v6
	global_load_dwordx2 v[6:7], v[1:2], off glc
	s_waitcnt vmcnt(0)
	global_atomic_cmpswap_x2 v[1:2], v5, v[6:9], s[6:7] offset:24 glc
	s_waitcnt vmcnt(0)
	buffer_wbinvl1_vol
	v_cmp_eq_u64_e32 vcc, v[1:2], v[8:9]
	s_or_b64 s[12:13], vcc, s[12:13]
	s_andn2_b64 exec, exec, s[12:13]
	s_cbranch_execnz .LBB2_140
; %bb.141:
	s_or_b64 exec, exec, s[12:13]
.LBB2_142:
	s_or_b64 exec, exec, s[10:11]
.LBB2_143:
	s_or_b64 exec, exec, s[8:9]
	v_mov_b32_e32 v6, 0
	global_load_dwordx2 v[11:12], v6, s[6:7] offset:40
	global_load_dwordx4 v[7:10], v6, s[6:7]
	v_readfirstlane_b32 s8, v1
	v_readfirstlane_b32 s9, v2
	s_mov_b64 s[10:11], exec
	s_waitcnt vmcnt(1)
	v_readfirstlane_b32 s12, v11
	v_readfirstlane_b32 s13, v12
	s_and_b64 s[12:13], s[8:9], s[12:13]
	s_mul_i32 s14, s13, 24
	s_mul_hi_u32 s15, s12, 24
	s_mul_i32 s16, s12, 24
	s_add_i32 s14, s15, s14
	v_mov_b32_e32 v1, s14
	s_waitcnt vmcnt(0)
	v_add_co_u32_e32 v11, vcc, s16, v7
	v_addc_co_u32_e32 v12, vcc, v8, v1, vcc
	s_and_saveexec_b64 s[14:15], s[4:5]
	s_cbranch_execz .LBB2_145
; %bb.144:
	v_mov_b32_e32 v14, s11
	v_mov_b32_e32 v13, s10
	;; [unrolled: 1-line block ×4, first 2 shown]
	global_store_dwordx4 v[11:12], v[13:16], off offset:8
.LBB2_145:
	s_or_b64 exec, exec, s[14:15]
	s_lshl_b64 s[10:11], s[12:13], 12
	v_mov_b32_e32 v1, s11
	v_add_co_u32_e32 v2, vcc, s10, v9
	v_addc_co_u32_e32 v1, vcc, v10, v1, vcc
	s_movk_i32 s10, 0xff1d
	v_bfe_i32 v5, v0, 0, 16
	v_and_or_b32 v3, v3, s10, 34
	s_mov_b32 s12, 0
	v_readfirstlane_b32 s10, v2
	v_readfirstlane_b32 s11, v1
	s_mov_b32 s13, s12
	s_mov_b32 s14, s12
	;; [unrolled: 1-line block ×3, first 2 shown]
	s_nop 1
	global_store_dwordx4 v32, v[3:6], s[10:11]
	v_mov_b32_e32 v0, s12
	v_mov_b32_e32 v1, s13
	;; [unrolled: 1-line block ×4, first 2 shown]
	global_store_dwordx4 v32, v[0:3], s[10:11] offset:16
	global_store_dwordx4 v32, v[0:3], s[10:11] offset:32
	global_store_dwordx4 v32, v[0:3], s[10:11] offset:48
	s_and_saveexec_b64 s[10:11], s[4:5]
	s_cbranch_execz .LBB2_153
; %bb.146:
	v_mov_b32_e32 v6, 0
	global_load_dwordx2 v[15:16], v6, s[6:7] offset:32 glc
	global_load_dwordx2 v[0:1], v6, s[6:7] offset:40
	v_mov_b32_e32 v13, s8
	v_mov_b32_e32 v14, s9
	s_waitcnt vmcnt(0)
	v_readfirstlane_b32 s12, v0
	v_readfirstlane_b32 s13, v1
	s_and_b64 s[12:13], s[12:13], s[8:9]
	s_mul_i32 s13, s13, 24
	s_mul_hi_u32 s14, s12, 24
	s_mul_i32 s12, s12, 24
	s_add_i32 s13, s14, s13
	v_mov_b32_e32 v0, s13
	v_add_co_u32_e32 v4, vcc, s12, v7
	v_addc_co_u32_e32 v5, vcc, v8, v0, vcc
	global_store_dwordx2 v[4:5], v[15:16], off
	s_waitcnt vmcnt(0)
	global_atomic_cmpswap_x2 v[2:3], v6, v[13:16], s[6:7] offset:32 glc
	s_waitcnt vmcnt(0)
	v_cmp_ne_u64_e32 vcc, v[2:3], v[15:16]
	s_and_saveexec_b64 s[12:13], vcc
	s_cbranch_execz .LBB2_149
; %bb.147:
	s_mov_b64 s[14:15], 0
.LBB2_148:                              ; =>This Inner Loop Header: Depth=1
	s_sleep 1
	global_store_dwordx2 v[4:5], v[2:3], off
	v_mov_b32_e32 v0, s8
	v_mov_b32_e32 v1, s9
	s_waitcnt vmcnt(0)
	global_atomic_cmpswap_x2 v[0:1], v6, v[0:3], s[6:7] offset:32 glc
	s_waitcnt vmcnt(0)
	v_cmp_eq_u64_e32 vcc, v[0:1], v[2:3]
	v_mov_b32_e32 v3, v1
	s_or_b64 s[14:15], vcc, s[14:15]
	v_mov_b32_e32 v2, v0
	s_andn2_b64 exec, exec, s[14:15]
	s_cbranch_execnz .LBB2_148
.LBB2_149:
	s_or_b64 exec, exec, s[12:13]
	v_mov_b32_e32 v3, 0
	global_load_dwordx2 v[0:1], v3, s[6:7] offset:16
	s_mov_b64 s[12:13], exec
	v_mbcnt_lo_u32_b32 v2, s12, 0
	v_mbcnt_hi_u32_b32 v2, s13, v2
	v_cmp_eq_u32_e32 vcc, 0, v2
	s_and_saveexec_b64 s[14:15], vcc
	s_cbranch_execz .LBB2_151
; %bb.150:
	s_bcnt1_i32_b64 s12, s[12:13]
	v_mov_b32_e32 v2, s12
	s_waitcnt vmcnt(0)
	global_atomic_add_x2 v[0:1], v[2:3], off offset:8
.LBB2_151:
	s_or_b64 exec, exec, s[14:15]
	s_waitcnt vmcnt(0)
	global_load_dwordx2 v[2:3], v[0:1], off offset:16
	s_waitcnt vmcnt(0)
	v_cmp_eq_u64_e32 vcc, 0, v[2:3]
	s_cbranch_vccnz .LBB2_153
; %bb.152:
	global_load_dword v0, v[0:1], off offset:24
	v_mov_b32_e32 v1, 0
	s_waitcnt vmcnt(0)
	global_store_dwordx2 v[2:3], v[0:1], off
	v_and_b32_e32 v0, 0xffffff, v0
	v_readfirstlane_b32 m0, v0
	s_sendmsg sendmsg(MSG_INTERRUPT)
.LBB2_153:
	s_or_b64 exec, exec, s[10:11]
	s_branch .LBB2_157
.LBB2_154:                              ;   in Loop: Header=BB2_157 Depth=1
	s_or_b64 exec, exec, s[10:11]
	v_readfirstlane_b32 s10, v0
	s_cmp_eq_u32 s10, 0
	s_cbranch_scc1 .LBB2_156
; %bb.155:                              ;   in Loop: Header=BB2_157 Depth=1
	s_sleep 1
	s_cbranch_execnz .LBB2_157
	s_branch .LBB2_159
.LBB2_156:
	s_branch .LBB2_159
.LBB2_157:                              ; =>This Inner Loop Header: Depth=1
	v_mov_b32_e32 v0, 1
	s_and_saveexec_b64 s[10:11], s[4:5]
	s_cbranch_execz .LBB2_154
; %bb.158:                              ;   in Loop: Header=BB2_157 Depth=1
	global_load_dword v0, v[11:12], off offset:20 glc
	s_waitcnt vmcnt(0)
	buffer_wbinvl1_vol
	v_and_b32_e32 v0, 1, v0
	s_branch .LBB2_154
.LBB2_159:
	s_and_saveexec_b64 s[10:11], s[4:5]
	s_cbranch_execz .LBB2_162
; %bb.160:
	v_mov_b32_e32 v6, 0
	global_load_dwordx2 v[2:3], v6, s[6:7] offset:40
	global_load_dwordx2 v[7:8], v6, s[6:7] offset:24 glc
	global_load_dwordx2 v[4:5], v6, s[6:7]
	v_mov_b32_e32 v1, s9
	s_mov_b64 s[4:5], 0
	s_waitcnt vmcnt(2)
	v_add_co_u32_e32 v9, vcc, 1, v2
	v_addc_co_u32_e32 v10, vcc, 0, v3, vcc
	v_add_co_u32_e32 v0, vcc, s8, v9
	v_addc_co_u32_e32 v1, vcc, v10, v1, vcc
	v_cmp_eq_u64_e32 vcc, 0, v[0:1]
	v_cndmask_b32_e32 v1, v1, v10, vcc
	v_cndmask_b32_e32 v0, v0, v9, vcc
	v_and_b32_e32 v3, v1, v3
	v_and_b32_e32 v2, v0, v2
	v_mul_lo_u32 v3, v3, 24
	v_mul_hi_u32 v9, v2, 24
	v_mul_lo_u32 v10, v2, 24
	s_waitcnt vmcnt(1)
	v_mov_b32_e32 v2, v7
	v_add_u32_e32 v3, v9, v3
	s_waitcnt vmcnt(0)
	v_add_co_u32_e32 v4, vcc, v4, v10
	v_addc_co_u32_e32 v5, vcc, v5, v3, vcc
	global_store_dwordx2 v[4:5], v[7:8], off
	v_mov_b32_e32 v3, v8
	s_waitcnt vmcnt(0)
	global_atomic_cmpswap_x2 v[2:3], v6, v[0:3], s[6:7] offset:24 glc
	s_waitcnt vmcnt(0)
	v_cmp_ne_u64_e32 vcc, v[2:3], v[7:8]
	s_and_b64 exec, exec, vcc
	s_cbranch_execz .LBB2_162
.LBB2_161:                              ; =>This Inner Loop Header: Depth=1
	s_sleep 1
	global_store_dwordx2 v[4:5], v[2:3], off
	s_waitcnt vmcnt(0)
	global_atomic_cmpswap_x2 v[7:8], v6, v[0:3], s[6:7] offset:24 glc
	s_waitcnt vmcnt(0)
	v_cmp_eq_u64_e32 vcc, v[7:8], v[2:3]
	v_mov_b32_e32 v2, v7
	s_or_b64 s[4:5], vcc, s[4:5]
	v_mov_b32_e32 v3, v8
	s_andn2_b64 exec, exec, s[4:5]
	s_cbranch_execnz .LBB2_161
.LBB2_162:
	s_or_b64 exec, exec, s[10:11]
	s_waitcnt vmcnt(0) lgkmcnt(0)
	s_setpc_b64 s[30:31]
.Lfunc_end2:
	.size	_ZNK8migraphx13basic_printerIZNS_4coutEvEUlT_E_ElsEc, .Lfunc_end2-_ZNK8migraphx13basic_printerIZNS_4coutEvEUlT_E_ElsEc
                                        ; -- End function
	.section	.AMDGPU.csdata,"",@progbits
; Function info:
; codeLenInByte = 5780
; NumSgprs: 36
; NumVgprs: 36
; ScratchSize: 0
; MemoryBound: 0
	.text
	.p2align	2                               ; -- Begin function _ZN8migraphx4test4failEv
	.type	_ZN8migraphx4test4failEv,@function
_ZN8migraphx4test4failEv:               ; @_ZN8migraphx4test4failEv
; %bb.0:
	s_waitcnt vmcnt(0) expcnt(0) lgkmcnt(0)
	v_mov_b32_e32 v0, 0
	global_load_dword v1, v0, s[8:9] offset:18
	global_load_ushort v2, v0, s[8:9] offset:22
	s_load_dwordx2 s[6:7], s[8:9], 0x0
	s_load_dword s10, s[8:9], 0x8
	s_waitcnt vmcnt(1)
	v_cmp_ne_u16_e32 vcc, 0, v1
	s_cmp_lg_u64 vcc, 0
	v_cmp_ne_u16_sdwa s[16:17], v1, v0 src0_sel:WORD_1 src1_sel:DWORD
	s_waitcnt lgkmcnt(0)
	s_addc_u32 s11, s6, 0
	s_cmp_lg_u64 s[16:17], 0
	s_waitcnt vmcnt(0)
	v_cmp_ne_u16_e64 s[4:5], 0, v2
	s_addc_u32 s15, s7, 0
	s_cmp_lg_u64 s[4:5], 0
	s_mul_i32 s11, s15, s11
	s_addc_u32 s4, s10, 0
	s_mul_i32 s11, s11, s4
	s_cmp_lg_u32 s11, 1
	s_cbranch_scc1 .LBB3_3
; %bb.1:
	s_cmp_lt_u32 s14, s10
	s_cselect_b32 s4, 16, 22
	s_add_u32 s4, s8, s4
	s_addc_u32 s5, s9, 0
	s_cmp_lt_u32 s13, s7
	s_cselect_b32 s7, 14, 20
	s_add_u32 s10, s8, s7
	s_addc_u32 s11, s9, 0
	s_cmp_lt_u32 s12, s6
	global_load_ushort v1, v0, s[4:5]
	global_load_ushort v2, v0, s[10:11]
	s_cselect_b32 s4, 12, 18
	s_add_u32 s4, s8, s4
	s_addc_u32 s5, s9, 0
	global_load_ushort v0, v0, s[4:5]
	s_waitcnt vmcnt(1)
	v_mul_lo_u32 v1, v2, v1
	s_waitcnt vmcnt(0)
	v_mul_lo_u32 v0, v1, v0
	v_cmp_lt_u32_e32 vcc, 64, v0
	s_cbranch_vccnz .LBB3_3
; %bb.2:
	s_endpgm
.LBB3_3:
	s_trap 2
.Lfunc_end3:
	.size	_ZN8migraphx4test4failEv, .Lfunc_end3-_ZN8migraphx4test4failEv
                                        ; -- End function
	.section	.AMDGPU.csdata,"",@progbits
; Function info:
; codeLenInByte = 224
; NumSgprs: 22
; NumVgprs: 3
; ScratchSize: 0
; MemoryBound: 0
	.text
	.p2align	2                               ; -- Begin function _ZL16merge_duplicatesRN8migraphx4test12test_managerE
	.type	_ZL16merge_duplicatesRN8migraphx4test12test_managerE,@function
_ZL16merge_duplicatesRN8migraphx4test12test_managerE: ; @_ZL16merge_duplicatesRN8migraphx4test12test_managerE
; %bb.0:
	s_waitcnt vmcnt(0) expcnt(0) lgkmcnt(0)
	s_mov_b32 s4, s33
	s_mov_b32 s33, s32
	s_or_saveexec_b64 s[6:7], -1
	buffer_store_dword v44, off, s[0:3], s33 offset:88 ; 4-byte Folded Spill
	s_mov_b64 exec, s[6:7]
	v_writelane_b32 v44, s4, 2
	v_writelane_b32 v44, s30, 0
	s_addk_i32 s32, 0x1800
	v_writelane_b32 v44, s31, 1
	v_mov_b32_e32 v42, v0
	v_mov_b32_e32 v0, 1
	;; [unrolled: 1-line block ×3, first 2 shown]
	buffer_store_dword v0, off, s[0:3], s33
	v_mov_b32_e32 v0, 2
	v_mov_b32_e32 v1, 3
	v_lshrrev_b32_e64 v3, 6, s33
	buffer_store_dword v0, off, s[0:3], s33 offset:4
	buffer_store_dword v1, off, s[0:3], s33 offset:8
	;; [unrolled: 1-line block ×4, first 2 shown]
	v_mov_b32_e32 v0, 4
	v_mov_b32_e32 v2, 0
	v_add_u32_e32 v3, 24, v3
	s_mov_b64 s[4:5], 0
	v_mov_b32_e32 v4, 0
	buffer_store_dword v0, off, s[0:3], s33 offset:20
	buffer_store_dword v2, off, s[0:3], s33 offset:24
	;; [unrolled: 1-line block ×7, first 2 shown]
                                        ; implicit-def: $sgpr6_sgpr7
                                        ; implicit-def: $sgpr16_sgpr17
                                        ; implicit-def: $sgpr10_sgpr11
	s_branch .LBB4_2
.LBB4_1:                                ;   in Loop: Header=BB4_2 Depth=1
	s_or_b64 exec, exec, s[18:19]
	s_and_b64 s[18:19], exec, s[16:17]
	s_or_b64 s[4:5], s[18:19], s[4:5]
	s_andn2_b64 s[6:7], s[6:7], exec
	s_and_b64 s[18:19], s[10:11], exec
	s_or_b64 s[6:7], s[6:7], s[18:19]
	s_andn2_b64 exec, exec, s[4:5]
	s_cbranch_execz .LBB4_4
.LBB4_2:                                ; =>This Inner Loop Header: Depth=1
	v_mov_b32_e32 v1, v4
	v_mov_b32_e32 v0, v3
	v_cmp_ne_u32_e32 vcc, 12, v2
	s_or_b64 s[10:11], s[10:11], exec
	s_or_b64 s[16:17], s[16:17], exec
                                        ; implicit-def: $vgpr4
                                        ; implicit-def: $vgpr3
	s_and_saveexec_b64 s[18:19], vcc
	s_cbranch_execz .LBB4_1
; %bb.3:                                ;   in Loop: Header=BB4_2 Depth=1
	v_lshrrev_b32_e64 v5, 6, s33
	v_lshrrev_b32_e64 v4, 6, s33
	v_add_u32_e32 v5, 12, v5
	v_add_u32_e32 v3, v4, v1
	;; [unrolled: 1-line block ×3, first 2 shown]
	buffer_load_dword v5, v4, s[0:3], 0 offen
	buffer_load_dword v6, v3, s[0:3], 0 offen
	s_andn2_b64 s[16:17], s[16:17], exec
	v_add_u32_e32 v3, 4, v0
	s_andn2_b64 s[10:11], s[10:11], exec
	s_waitcnt vmcnt(0)
	v_cmp_ge_i32_e32 vcc, v5, v6
	v_cndmask_b32_e64 v4, 0, 1, vcc
	v_cmp_lt_i32_e32 vcc, v5, v6
	v_lshl_add_u32 v4, v4, 2, v1
	v_min_i32_e32 v7, v5, v6
	v_cndmask_b32_e64 v5, 0, 1, vcc
	v_cmp_eq_u32_e32 vcc, 12, v4
	s_and_b64 s[20:21], vcc, exec
	v_lshl_add_u32 v2, v5, 2, v2
	s_or_b64 s[16:17], s[16:17], s[20:21]
	buffer_store_dword v7, v0, s[0:3], 0 offen
	s_branch .LBB4_1
.LBB4_4:
	s_or_b64 exec, exec, s[4:5]
	s_xor_b64 s[4:5], s[6:7], -1
	s_and_saveexec_b64 s[6:7], s[4:5]
	s_xor_b64 s[4:5], exec, s[6:7]
	s_cbranch_execz .LBB4_9
; %bb.5:
	v_cmp_ne_u32_e32 vcc, 12, v2
	s_and_saveexec_b64 s[6:7], vcc
	s_cbranch_execz .LBB4_8
; %bb.6:
	v_lshrrev_b32_e64 v5, 6, s33
	v_add_u32_e32 v5, 12, v5
	v_add_u32_e32 v4, v5, v2
	v_sub_u32_e32 v2, 12, v2
	s_mov_b32 s15, 0
	s_mov_b64 s[10:11], 0
.LBB4_7:                                ; =>This Inner Loop Header: Depth=1
	v_add_u32_e32 v5, s15, v4
	buffer_load_dword v5, v5, s[0:3], 0 offen
	v_add_u32_e32 v6, s15, v3
	s_add_i32 s15, s15, 4
	v_cmp_eq_u32_e32 vcc, s15, v2
	s_or_b64 s[10:11], vcc, s[10:11]
	s_waitcnt vmcnt(0)
	buffer_store_dword v5, v6, s[0:3], 0 offen
	s_andn2_b64 exec, exec, s[10:11]
	s_cbranch_execnz .LBB4_7
.LBB4_8:
	s_or_b64 exec, exec, s[6:7]
.LBB4_9:
	s_andn2_saveexec_b64 s[4:5], s[4:5]
	s_cbranch_execz .LBB4_13
; %bb.10:
	v_lshrrev_b32_e64 v3, 6, s33
	v_add_u32_e32 v2, v3, v1
	v_sub_u32_e32 v1, 12, v1
	s_mov_b32 s10, 0
	s_mov_b64 s[6:7], 0
.LBB4_11:                               ; =>This Inner Loop Header: Depth=1
	v_add_u32_e32 v3, s10, v2
	buffer_load_dword v3, v3, s[0:3], 0 offen
	v_add_u32_e32 v4, s10, v0
	s_add_i32 s10, s10, 4
	v_cmp_eq_u32_e32 vcc, s10, v1
	s_or_b64 s[6:7], vcc, s[6:7]
	s_waitcnt vmcnt(0)
	buffer_store_dword v3, v4, s[0:3], 0 offen
	s_andn2_b64 exec, exec, s[6:7]
	s_cbranch_execnz .LBB4_11
; %bb.12:
	s_or_b64 exec, exec, s[6:7]
.LBB4_13:
	s_or_b64 exec, exec, s[4:5]
	buffer_load_dword v0, off, s[0:3], s33 offset:40
	buffer_load_dword v1, off, s[0:3], s33 offset:44
	;; [unrolled: 1-line block ×6, first 2 shown]
	s_mov_b64 s[4:5], src_private_base
	v_mov_b32_e32 v6, 1
	v_mov_b32_e32 v7, 2
	;; [unrolled: 1-line block ×4, first 2 shown]
	buffer_store_dword v6, off, s[0:3], s33 offset:48
	buffer_store_dword v7, off, s[0:3], s33 offset:52
	;; [unrolled: 1-line block ×6, first 2 shown]
	v_mov_b32_e32 v6, s5
	v_lshrrev_b32_e64 v10, 6, s33
	v_add_u32_e32 v10, 24, v10
	v_lshrrev_b32_e64 v11, 6, s33
	v_add_u32_e32 v11, 48, v11
	buffer_store_dword v10, off, s[0:3], s33 offset:72
	buffer_store_dword v11, off, s[0:3], s33 offset:80
	;; [unrolled: 1-line block ×4, first 2 shown]
	s_waitcnt vmcnt(15)
	v_cmp_ne_u32_e32 vcc, 3, v0
	s_waitcnt vmcnt(14)
	v_cmp_ne_u32_e64 s[4:5], 4, v1
	s_waitcnt vmcnt(13)
	v_cmp_ne_u32_e64 s[6:7], 2, v2
	v_cndmask_b32_e64 v0, 0, 1, s[6:7]
	s_waitcnt vmcnt(12)
	v_cmp_ne_u32_e64 s[6:7], 3, v3
	v_cndmask_b32_e64 v1, 0, 1, s[6:7]
	;; [unrolled: 3-line block ×4, first 2 shown]
	v_lshlrev_b16_e32 v0, 2, v0
	v_lshlrev_b16_e32 v1, 3, v1
	;; [unrolled: 1-line block ×3, first 2 shown]
	v_or_b32_e32 v0, v1, v0
	v_or_b32_e32 v1, v3, v2
	v_and_b32_e32 v1, 3, v1
	v_or_b32_e32 v0, v1, v0
	v_and_b32_e32 v0, 15, v0
	v_cmp_ne_u16_e64 s[6:7], 0, v0
	s_or_b64 s[6:7], s[6:7], vcc
	s_or_b64 s[4:5], s[6:7], s[4:5]
	s_and_saveexec_b64 s[6:7], s[4:5]
	s_xor_b64 s[44:45], exec, s[6:7]
	s_cbranch_execz .LBB4_1575
; %bb.14:
	v_and_b32_e32 v0, 0x3ff, v31
	v_cmp_eq_u32_e32 vcc, 0, v0
	s_and_saveexec_b64 s[46:47], vcc
	s_cbranch_execz .LBB4_1574
; %bb.15:
	s_load_dwordx2 s[6:7], s[8:9], 0x50
	v_mbcnt_lo_u32_b32 v0, -1, 0
	v_mbcnt_hi_u32_b32 v32, -1, v0
	v_readfirstlane_b32 s4, v32
	v_mov_b32_e32 v5, 0
	v_mov_b32_e32 v6, 0
	v_cmp_eq_u32_e64 s[4:5], s4, v32
	s_and_saveexec_b64 s[10:11], s[4:5]
	s_cbranch_execz .LBB4_21
; %bb.16:
	v_mov_b32_e32 v0, 0
	s_waitcnt lgkmcnt(0)
	global_load_dwordx2 v[3:4], v0, s[6:7] offset:24 glc
	s_waitcnt vmcnt(0)
	buffer_wbinvl1_vol
	global_load_dwordx2 v[1:2], v0, s[6:7] offset:40
	global_load_dwordx2 v[5:6], v0, s[6:7]
	s_waitcnt vmcnt(1)
	v_and_b32_e32 v1, v1, v3
	v_and_b32_e32 v2, v2, v4
	v_mul_lo_u32 v2, v2, 24
	v_mul_hi_u32 v7, v1, 24
	v_mul_lo_u32 v1, v1, 24
	v_add_u32_e32 v2, v7, v2
	s_waitcnt vmcnt(0)
	v_add_co_u32_e32 v1, vcc, v5, v1
	v_addc_co_u32_e32 v2, vcc, v6, v2, vcc
	global_load_dwordx2 v[1:2], v[1:2], off glc
	s_waitcnt vmcnt(0)
	global_atomic_cmpswap_x2 v[5:6], v0, v[1:4], s[6:7] offset:24 glc
	s_waitcnt vmcnt(0)
	buffer_wbinvl1_vol
	v_cmp_ne_u64_e32 vcc, v[5:6], v[3:4]
	s_and_saveexec_b64 s[16:17], vcc
	s_cbranch_execz .LBB4_20
; %bb.17:
	s_mov_b64 s[18:19], 0
.LBB4_18:                               ; =>This Inner Loop Header: Depth=1
	s_sleep 1
	global_load_dwordx2 v[1:2], v0, s[6:7] offset:40
	global_load_dwordx2 v[7:8], v0, s[6:7]
	v_mov_b32_e32 v3, v5
	v_mov_b32_e32 v4, v6
	s_waitcnt vmcnt(1)
	v_and_b32_e32 v1, v1, v3
	s_waitcnt vmcnt(0)
	v_mad_u64_u32 v[5:6], s[20:21], v1, 24, v[7:8]
	v_and_b32_e32 v2, v2, v4
	v_mov_b32_e32 v1, v6
	v_mad_u64_u32 v[1:2], s[20:21], v2, 24, v[1:2]
	v_mov_b32_e32 v6, v1
	global_load_dwordx2 v[1:2], v[5:6], off glc
	s_waitcnt vmcnt(0)
	global_atomic_cmpswap_x2 v[5:6], v0, v[1:4], s[6:7] offset:24 glc
	s_waitcnt vmcnt(0)
	buffer_wbinvl1_vol
	v_cmp_eq_u64_e32 vcc, v[5:6], v[3:4]
	s_or_b64 s[18:19], vcc, s[18:19]
	s_andn2_b64 exec, exec, s[18:19]
	s_cbranch_execnz .LBB4_18
; %bb.19:
	s_or_b64 exec, exec, s[18:19]
.LBB4_20:
	s_or_b64 exec, exec, s[16:17]
.LBB4_21:
	s_or_b64 exec, exec, s[10:11]
	v_mov_b32_e32 v4, 0
	s_waitcnt lgkmcnt(0)
	global_load_dwordx2 v[7:8], v4, s[6:7] offset:40
	global_load_dwordx4 v[0:3], v4, s[6:7]
	v_readfirstlane_b32 s10, v5
	v_readfirstlane_b32 s11, v6
	s_mov_b64 s[16:17], exec
	s_waitcnt vmcnt(1)
	v_readfirstlane_b32 s18, v7
	v_readfirstlane_b32 s19, v8
	s_and_b64 s[18:19], s[10:11], s[18:19]
	s_mul_i32 s15, s19, 24
	s_mul_hi_u32 s20, s18, 24
	s_mul_i32 s21, s18, 24
	s_add_i32 s15, s20, s15
	v_mov_b32_e32 v5, s15
	s_waitcnt vmcnt(0)
	v_add_co_u32_e32 v7, vcc, s21, v0
	v_addc_co_u32_e32 v8, vcc, v1, v5, vcc
	s_and_saveexec_b64 s[20:21], s[4:5]
	s_cbranch_execz .LBB4_23
; %bb.22:
	v_mov_b32_e32 v9, s16
	v_mov_b32_e32 v10, s17
	;; [unrolled: 1-line block ×4, first 2 shown]
	global_store_dwordx4 v[7:8], v[9:12], off offset:8
.LBB4_23:
	s_or_b64 exec, exec, s[20:21]
	s_lshl_b64 s[16:17], s[18:19], 12
	v_mov_b32_e32 v5, s17
	v_add_co_u32_e32 v2, vcc, s16, v2
	v_addc_co_u32_e32 v11, vcc, v3, v5, vcc
	s_mov_b32 s16, 0
	v_lshlrev_b32_e32 v31, 6, v32
	v_mov_b32_e32 v3, 33
	v_mov_b32_e32 v5, v4
	;; [unrolled: 1-line block ×3, first 2 shown]
	v_readfirstlane_b32 s20, v2
	v_readfirstlane_b32 s21, v11
	v_add_co_u32_e32 v9, vcc, v2, v31
	s_mov_b32 s17, s16
	s_mov_b32 s18, s16
	;; [unrolled: 1-line block ×3, first 2 shown]
	s_nop 0
	global_store_dwordx4 v31, v[3:6], s[20:21]
	v_mov_b32_e32 v2, s16
	v_addc_co_u32_e32 v10, vcc, 0, v11, vcc
	v_mov_b32_e32 v3, s17
	v_mov_b32_e32 v4, s18
	;; [unrolled: 1-line block ×3, first 2 shown]
	global_store_dwordx4 v31, v[2:5], s[20:21] offset:16
	global_store_dwordx4 v31, v[2:5], s[20:21] offset:32
	;; [unrolled: 1-line block ×3, first 2 shown]
	s_and_saveexec_b64 s[16:17], s[4:5]
	s_cbranch_execz .LBB4_31
; %bb.24:
	v_mov_b32_e32 v6, 0
	global_load_dwordx2 v[13:14], v6, s[6:7] offset:32 glc
	global_load_dwordx2 v[2:3], v6, s[6:7] offset:40
	v_mov_b32_e32 v11, s10
	v_mov_b32_e32 v12, s11
	s_waitcnt vmcnt(0)
	v_and_b32_e32 v2, s10, v2
	v_and_b32_e32 v3, s11, v3
	v_mul_lo_u32 v3, v3, 24
	v_mul_hi_u32 v4, v2, 24
	v_mul_lo_u32 v2, v2, 24
	v_add_u32_e32 v3, v4, v3
	v_add_co_u32_e32 v4, vcc, v0, v2
	v_addc_co_u32_e32 v5, vcc, v1, v3, vcc
	global_store_dwordx2 v[4:5], v[13:14], off
	s_waitcnt vmcnt(0)
	global_atomic_cmpswap_x2 v[2:3], v6, v[11:14], s[6:7] offset:32 glc
	s_waitcnt vmcnt(0)
	v_cmp_ne_u64_e32 vcc, v[2:3], v[13:14]
	s_and_saveexec_b64 s[18:19], vcc
	s_cbranch_execz .LBB4_27
; %bb.25:
	s_mov_b64 s[20:21], 0
.LBB4_26:                               ; =>This Inner Loop Header: Depth=1
	s_sleep 1
	global_store_dwordx2 v[4:5], v[2:3], off
	v_mov_b32_e32 v0, s10
	v_mov_b32_e32 v1, s11
	s_waitcnt vmcnt(0)
	global_atomic_cmpswap_x2 v[0:1], v6, v[0:3], s[6:7] offset:32 glc
	s_waitcnt vmcnt(0)
	v_cmp_eq_u64_e32 vcc, v[0:1], v[2:3]
	v_mov_b32_e32 v3, v1
	s_or_b64 s[20:21], vcc, s[20:21]
	v_mov_b32_e32 v2, v0
	s_andn2_b64 exec, exec, s[20:21]
	s_cbranch_execnz .LBB4_26
.LBB4_27:
	s_or_b64 exec, exec, s[18:19]
	v_mov_b32_e32 v3, 0
	global_load_dwordx2 v[0:1], v3, s[6:7] offset:16
	s_mov_b64 s[18:19], exec
	v_mbcnt_lo_u32_b32 v2, s18, 0
	v_mbcnt_hi_u32_b32 v2, s19, v2
	v_cmp_eq_u32_e32 vcc, 0, v2
	s_and_saveexec_b64 s[20:21], vcc
	s_cbranch_execz .LBB4_29
; %bb.28:
	s_bcnt1_i32_b64 s15, s[18:19]
	v_mov_b32_e32 v2, s15
	s_waitcnt vmcnt(0)
	global_atomic_add_x2 v[0:1], v[2:3], off offset:8
.LBB4_29:
	s_or_b64 exec, exec, s[20:21]
	s_waitcnt vmcnt(0)
	global_load_dwordx2 v[2:3], v[0:1], off offset:16
	s_waitcnt vmcnt(0)
	v_cmp_eq_u64_e32 vcc, 0, v[2:3]
	s_cbranch_vccnz .LBB4_31
; %bb.30:
	global_load_dword v0, v[0:1], off offset:24
	v_mov_b32_e32 v1, 0
	s_waitcnt vmcnt(0)
	global_store_dwordx2 v[2:3], v[0:1], off
	v_and_b32_e32 v0, 0xffffff, v0
	v_readfirstlane_b32 m0, v0
	s_sendmsg sendmsg(MSG_INTERRUPT)
.LBB4_31:
	s_or_b64 exec, exec, s[16:17]
	s_branch .LBB4_35
.LBB4_32:                               ;   in Loop: Header=BB4_35 Depth=1
	s_or_b64 exec, exec, s[16:17]
	v_readfirstlane_b32 s15, v0
	s_cmp_eq_u32 s15, 0
	s_cbranch_scc1 .LBB4_34
; %bb.33:                               ;   in Loop: Header=BB4_35 Depth=1
	s_sleep 1
	s_cbranch_execnz .LBB4_35
	s_branch .LBB4_37
.LBB4_34:
	s_branch .LBB4_37
.LBB4_35:                               ; =>This Inner Loop Header: Depth=1
	v_mov_b32_e32 v0, 1
	s_and_saveexec_b64 s[16:17], s[4:5]
	s_cbranch_execz .LBB4_32
; %bb.36:                               ;   in Loop: Header=BB4_35 Depth=1
	global_load_dword v0, v[7:8], off offset:20 glc
	s_waitcnt vmcnt(0)
	buffer_wbinvl1_vol
	v_and_b32_e32 v0, 1, v0
	s_branch .LBB4_32
.LBB4_37:
	global_load_dwordx2 v[4:5], v[9:10], off
	s_and_saveexec_b64 s[16:17], s[4:5]
	s_cbranch_execz .LBB4_40
; %bb.38:
	v_mov_b32_e32 v8, 0
	global_load_dwordx2 v[2:3], v8, s[6:7] offset:40
	global_load_dwordx2 v[9:10], v8, s[6:7] offset:24 glc
	global_load_dwordx2 v[6:7], v8, s[6:7]
	v_mov_b32_e32 v1, s11
	s_mov_b64 s[4:5], 0
	s_waitcnt vmcnt(2)
	v_add_co_u32_e32 v11, vcc, 1, v2
	v_addc_co_u32_e32 v12, vcc, 0, v3, vcc
	v_add_co_u32_e32 v0, vcc, s10, v11
	v_addc_co_u32_e32 v1, vcc, v12, v1, vcc
	v_cmp_eq_u64_e32 vcc, 0, v[0:1]
	v_cndmask_b32_e32 v1, v1, v12, vcc
	v_cndmask_b32_e32 v0, v0, v11, vcc
	v_and_b32_e32 v3, v1, v3
	v_and_b32_e32 v2, v0, v2
	v_mul_lo_u32 v3, v3, 24
	v_mul_hi_u32 v11, v2, 24
	v_mul_lo_u32 v12, v2, 24
	s_waitcnt vmcnt(1)
	v_mov_b32_e32 v2, v9
	v_add_u32_e32 v3, v11, v3
	s_waitcnt vmcnt(0)
	v_add_co_u32_e32 v6, vcc, v6, v12
	v_addc_co_u32_e32 v7, vcc, v7, v3, vcc
	global_store_dwordx2 v[6:7], v[9:10], off
	v_mov_b32_e32 v3, v10
	s_waitcnt vmcnt(0)
	global_atomic_cmpswap_x2 v[2:3], v8, v[0:3], s[6:7] offset:24 glc
	s_waitcnt vmcnt(0)
	v_cmp_ne_u64_e32 vcc, v[2:3], v[9:10]
	s_and_b64 exec, exec, vcc
	s_cbranch_execz .LBB4_40
.LBB4_39:                               ; =>This Inner Loop Header: Depth=1
	s_sleep 1
	global_store_dwordx2 v[6:7], v[2:3], off
	s_waitcnt vmcnt(0)
	global_atomic_cmpswap_x2 v[9:10], v8, v[0:3], s[6:7] offset:24 glc
	s_waitcnt vmcnt(0)
	v_cmp_eq_u64_e32 vcc, v[9:10], v[2:3]
	v_mov_b32_e32 v2, v9
	s_or_b64 s[4:5], vcc, s[4:5]
	v_mov_b32_e32 v3, v10
	s_andn2_b64 exec, exec, s[4:5]
	s_cbranch_execnz .LBB4_39
.LBB4_40:
	s_or_b64 exec, exec, s[16:17]
	s_getpc_b64 s[16:17]
	s_add_u32 s16, s16, .str.5@rel32@lo+4
	s_addc_u32 s17, s17, .str.5@rel32@hi+12
	s_cmp_lg_u64 s[16:17], 0
	s_cselect_b64 s[10:11], -1, 0
	s_and_b64 vcc, exec, s[10:11]
	s_cbranch_vccz .LBB4_125
; %bb.41:
	s_waitcnt vmcnt(0)
	v_and_b32_e32 v29, 2, v4
	v_mov_b32_e32 v26, 0
	v_and_b32_e32 v0, -3, v4
	v_mov_b32_e32 v1, v5
	s_mov_b64 s[18:19], 3
	v_mov_b32_e32 v8, 2
	v_mov_b32_e32 v9, 1
	s_branch .LBB4_43
.LBB4_42:                               ;   in Loop: Header=BB4_43 Depth=1
	s_or_b64 exec, exec, s[24:25]
	s_sub_u32 s18, s18, s20
	s_subb_u32 s19, s19, s21
	s_add_u32 s16, s16, s20
	s_addc_u32 s17, s17, s21
	s_cmp_lg_u64 s[18:19], 0
	s_cbranch_scc0 .LBB4_124
.LBB4_43:                               ; =>This Loop Header: Depth=1
                                        ;     Child Loop BB4_46 Depth 2
                                        ;     Child Loop BB4_53 Depth 2
	;; [unrolled: 1-line block ×11, first 2 shown]
	v_cmp_lt_u64_e64 s[4:5], s[18:19], 56
	v_cmp_gt_u64_e64 s[22:23], s[18:19], 7
	s_and_b64 s[4:5], s[4:5], exec
	s_cselect_b32 s21, s19, 0
	s_cselect_b32 s20, s18, 56
	s_and_b64 vcc, exec, s[22:23]
	s_cbranch_vccnz .LBB4_48
; %bb.44:                               ;   in Loop: Header=BB4_43 Depth=1
	s_waitcnt vmcnt(0)
	v_mov_b32_e32 v2, 0
	s_cmp_eq_u64 s[18:19], 0
	v_mov_b32_e32 v3, 0
	s_mov_b64 s[4:5], 0
	s_cbranch_scc1 .LBB4_47
; %bb.45:                               ;   in Loop: Header=BB4_43 Depth=1
	v_mov_b32_e32 v2, 0
	s_lshl_b64 s[22:23], s[20:21], 3
	s_mov_b64 s[24:25], 0
	v_mov_b32_e32 v3, 0
	s_mov_b64 s[26:27], s[16:17]
.LBB4_46:                               ;   Parent Loop BB4_43 Depth=1
                                        ; =>  This Inner Loop Header: Depth=2
	global_load_ubyte v6, v26, s[26:27]
	s_waitcnt vmcnt(0)
	v_and_b32_e32 v25, 0xffff, v6
	v_lshlrev_b64 v[6:7], s24, v[25:26]
	s_add_u32 s24, s24, 8
	s_addc_u32 s25, s25, 0
	s_add_u32 s26, s26, 1
	s_addc_u32 s27, s27, 0
	v_or_b32_e32 v2, v6, v2
	s_cmp_lg_u32 s22, s24
	v_or_b32_e32 v3, v7, v3
	s_cbranch_scc1 .LBB4_46
.LBB4_47:                               ;   in Loop: Header=BB4_43 Depth=1
	s_mov_b32 s15, 0
	s_andn2_b64 vcc, exec, s[4:5]
	s_mov_b64 s[4:5], s[16:17]
	s_cbranch_vccz .LBB4_49
	s_branch .LBB4_50
.LBB4_48:                               ;   in Loop: Header=BB4_43 Depth=1
                                        ; implicit-def: $vgpr2_vgpr3
                                        ; implicit-def: $sgpr15
	s_mov_b64 s[4:5], s[16:17]
.LBB4_49:                               ;   in Loop: Header=BB4_43 Depth=1
	global_load_dwordx2 v[2:3], v26, s[16:17]
	s_add_i32 s15, s20, -8
	s_add_u32 s4, s16, 8
	s_addc_u32 s5, s17, 0
.LBB4_50:                               ;   in Loop: Header=BB4_43 Depth=1
	s_cmp_gt_u32 s15, 7
	s_cbranch_scc1 .LBB4_54
; %bb.51:                               ;   in Loop: Header=BB4_43 Depth=1
	s_cmp_eq_u32 s15, 0
	s_cbranch_scc1 .LBB4_55
; %bb.52:                               ;   in Loop: Header=BB4_43 Depth=1
	v_mov_b32_e32 v10, 0
	s_mov_b64 s[22:23], 0
	v_mov_b32_e32 v11, 0
	s_mov_b64 s[24:25], 0
.LBB4_53:                               ;   Parent Loop BB4_43 Depth=1
                                        ; =>  This Inner Loop Header: Depth=2
	s_add_u32 s26, s4, s24
	s_addc_u32 s27, s5, s25
	global_load_ubyte v6, v26, s[26:27]
	s_add_u32 s24, s24, 1
	s_addc_u32 s25, s25, 0
	s_waitcnt vmcnt(0)
	v_and_b32_e32 v25, 0xffff, v6
	v_lshlrev_b64 v[6:7], s22, v[25:26]
	s_add_u32 s22, s22, 8
	s_addc_u32 s23, s23, 0
	v_or_b32_e32 v10, v6, v10
	s_cmp_lg_u32 s15, s24
	v_or_b32_e32 v11, v7, v11
	s_cbranch_scc1 .LBB4_53
	s_branch .LBB4_56
.LBB4_54:                               ;   in Loop: Header=BB4_43 Depth=1
                                        ; implicit-def: $vgpr10_vgpr11
                                        ; implicit-def: $sgpr26
	s_branch .LBB4_57
.LBB4_55:                               ;   in Loop: Header=BB4_43 Depth=1
	v_mov_b32_e32 v10, 0
	v_mov_b32_e32 v11, 0
.LBB4_56:                               ;   in Loop: Header=BB4_43 Depth=1
	s_mov_b32 s26, 0
	s_cbranch_execnz .LBB4_58
.LBB4_57:                               ;   in Loop: Header=BB4_43 Depth=1
	global_load_dwordx2 v[10:11], v26, s[4:5]
	s_add_i32 s26, s15, -8
	s_add_u32 s4, s4, 8
	s_addc_u32 s5, s5, 0
.LBB4_58:                               ;   in Loop: Header=BB4_43 Depth=1
	s_cmp_gt_u32 s26, 7
	s_cbranch_scc1 .LBB4_62
; %bb.59:                               ;   in Loop: Header=BB4_43 Depth=1
	s_cmp_eq_u32 s26, 0
	s_cbranch_scc1 .LBB4_63
; %bb.60:                               ;   in Loop: Header=BB4_43 Depth=1
	v_mov_b32_e32 v12, 0
	s_mov_b64 s[22:23], 0
	v_mov_b32_e32 v13, 0
	s_mov_b64 s[24:25], 0
.LBB4_61:                               ;   Parent Loop BB4_43 Depth=1
                                        ; =>  This Inner Loop Header: Depth=2
	s_add_u32 s28, s4, s24
	s_addc_u32 s29, s5, s25
	global_load_ubyte v6, v26, s[28:29]
	s_add_u32 s24, s24, 1
	s_addc_u32 s25, s25, 0
	s_waitcnt vmcnt(0)
	v_and_b32_e32 v25, 0xffff, v6
	v_lshlrev_b64 v[6:7], s22, v[25:26]
	s_add_u32 s22, s22, 8
	s_addc_u32 s23, s23, 0
	v_or_b32_e32 v12, v6, v12
	s_cmp_lg_u32 s26, s24
	v_or_b32_e32 v13, v7, v13
	s_cbranch_scc1 .LBB4_61
	s_branch .LBB4_64
.LBB4_62:                               ;   in Loop: Header=BB4_43 Depth=1
                                        ; implicit-def: $sgpr15
	s_branch .LBB4_65
.LBB4_63:                               ;   in Loop: Header=BB4_43 Depth=1
	v_mov_b32_e32 v12, 0
	v_mov_b32_e32 v13, 0
.LBB4_64:                               ;   in Loop: Header=BB4_43 Depth=1
	s_mov_b32 s15, 0
	s_cbranch_execnz .LBB4_66
.LBB4_65:                               ;   in Loop: Header=BB4_43 Depth=1
	global_load_dwordx2 v[12:13], v26, s[4:5]
	s_add_i32 s15, s26, -8
	s_add_u32 s4, s4, 8
	s_addc_u32 s5, s5, 0
.LBB4_66:                               ;   in Loop: Header=BB4_43 Depth=1
	s_cmp_gt_u32 s15, 7
	s_cbranch_scc1 .LBB4_70
; %bb.67:                               ;   in Loop: Header=BB4_43 Depth=1
	s_cmp_eq_u32 s15, 0
	s_cbranch_scc1 .LBB4_71
; %bb.68:                               ;   in Loop: Header=BB4_43 Depth=1
	v_mov_b32_e32 v14, 0
	s_mov_b64 s[22:23], 0
	v_mov_b32_e32 v15, 0
	s_mov_b64 s[24:25], 0
.LBB4_69:                               ;   Parent Loop BB4_43 Depth=1
                                        ; =>  This Inner Loop Header: Depth=2
	s_add_u32 s26, s4, s24
	s_addc_u32 s27, s5, s25
	global_load_ubyte v6, v26, s[26:27]
	s_add_u32 s24, s24, 1
	s_addc_u32 s25, s25, 0
	s_waitcnt vmcnt(0)
	v_and_b32_e32 v25, 0xffff, v6
	v_lshlrev_b64 v[6:7], s22, v[25:26]
	s_add_u32 s22, s22, 8
	s_addc_u32 s23, s23, 0
	v_or_b32_e32 v14, v6, v14
	s_cmp_lg_u32 s15, s24
	v_or_b32_e32 v15, v7, v15
	s_cbranch_scc1 .LBB4_69
	s_branch .LBB4_72
.LBB4_70:                               ;   in Loop: Header=BB4_43 Depth=1
                                        ; implicit-def: $vgpr14_vgpr15
                                        ; implicit-def: $sgpr26
	s_branch .LBB4_73
.LBB4_71:                               ;   in Loop: Header=BB4_43 Depth=1
	v_mov_b32_e32 v14, 0
	v_mov_b32_e32 v15, 0
.LBB4_72:                               ;   in Loop: Header=BB4_43 Depth=1
	s_mov_b32 s26, 0
	s_cbranch_execnz .LBB4_74
.LBB4_73:                               ;   in Loop: Header=BB4_43 Depth=1
	global_load_dwordx2 v[14:15], v26, s[4:5]
	s_add_i32 s26, s15, -8
	s_add_u32 s4, s4, 8
	s_addc_u32 s5, s5, 0
.LBB4_74:                               ;   in Loop: Header=BB4_43 Depth=1
	s_cmp_gt_u32 s26, 7
	s_cbranch_scc1 .LBB4_78
; %bb.75:                               ;   in Loop: Header=BB4_43 Depth=1
	s_cmp_eq_u32 s26, 0
	s_cbranch_scc1 .LBB4_79
; %bb.76:                               ;   in Loop: Header=BB4_43 Depth=1
	v_mov_b32_e32 v16, 0
	s_mov_b64 s[22:23], 0
	v_mov_b32_e32 v17, 0
	s_mov_b64 s[24:25], 0
.LBB4_77:                               ;   Parent Loop BB4_43 Depth=1
                                        ; =>  This Inner Loop Header: Depth=2
	s_add_u32 s28, s4, s24
	s_addc_u32 s29, s5, s25
	global_load_ubyte v6, v26, s[28:29]
	s_add_u32 s24, s24, 1
	s_addc_u32 s25, s25, 0
	s_waitcnt vmcnt(0)
	v_and_b32_e32 v25, 0xffff, v6
	v_lshlrev_b64 v[6:7], s22, v[25:26]
	s_add_u32 s22, s22, 8
	s_addc_u32 s23, s23, 0
	v_or_b32_e32 v16, v6, v16
	s_cmp_lg_u32 s26, s24
	v_or_b32_e32 v17, v7, v17
	s_cbranch_scc1 .LBB4_77
	s_branch .LBB4_80
.LBB4_78:                               ;   in Loop: Header=BB4_43 Depth=1
                                        ; implicit-def: $sgpr15
	s_branch .LBB4_81
.LBB4_79:                               ;   in Loop: Header=BB4_43 Depth=1
	v_mov_b32_e32 v16, 0
	v_mov_b32_e32 v17, 0
.LBB4_80:                               ;   in Loop: Header=BB4_43 Depth=1
	s_mov_b32 s15, 0
	s_cbranch_execnz .LBB4_82
.LBB4_81:                               ;   in Loop: Header=BB4_43 Depth=1
	global_load_dwordx2 v[16:17], v26, s[4:5]
	s_add_i32 s15, s26, -8
	s_add_u32 s4, s4, 8
	s_addc_u32 s5, s5, 0
.LBB4_82:                               ;   in Loop: Header=BB4_43 Depth=1
	s_cmp_gt_u32 s15, 7
	s_cbranch_scc1 .LBB4_86
; %bb.83:                               ;   in Loop: Header=BB4_43 Depth=1
	s_cmp_eq_u32 s15, 0
	s_cbranch_scc1 .LBB4_87
; %bb.84:                               ;   in Loop: Header=BB4_43 Depth=1
	v_mov_b32_e32 v18, 0
	s_mov_b64 s[22:23], 0
	v_mov_b32_e32 v19, 0
	s_mov_b64 s[24:25], 0
.LBB4_85:                               ;   Parent Loop BB4_43 Depth=1
                                        ; =>  This Inner Loop Header: Depth=2
	s_add_u32 s26, s4, s24
	s_addc_u32 s27, s5, s25
	global_load_ubyte v6, v26, s[26:27]
	s_add_u32 s24, s24, 1
	s_addc_u32 s25, s25, 0
	s_waitcnt vmcnt(0)
	v_and_b32_e32 v25, 0xffff, v6
	v_lshlrev_b64 v[6:7], s22, v[25:26]
	s_add_u32 s22, s22, 8
	s_addc_u32 s23, s23, 0
	v_or_b32_e32 v18, v6, v18
	s_cmp_lg_u32 s15, s24
	v_or_b32_e32 v19, v7, v19
	s_cbranch_scc1 .LBB4_85
	s_branch .LBB4_88
.LBB4_86:                               ;   in Loop: Header=BB4_43 Depth=1
                                        ; implicit-def: $vgpr18_vgpr19
                                        ; implicit-def: $sgpr26
	s_branch .LBB4_89
.LBB4_87:                               ;   in Loop: Header=BB4_43 Depth=1
	v_mov_b32_e32 v18, 0
	v_mov_b32_e32 v19, 0
.LBB4_88:                               ;   in Loop: Header=BB4_43 Depth=1
	s_mov_b32 s26, 0
	s_cbranch_execnz .LBB4_90
.LBB4_89:                               ;   in Loop: Header=BB4_43 Depth=1
	global_load_dwordx2 v[18:19], v26, s[4:5]
	s_add_i32 s26, s15, -8
	s_add_u32 s4, s4, 8
	s_addc_u32 s5, s5, 0
.LBB4_90:                               ;   in Loop: Header=BB4_43 Depth=1
	s_cmp_gt_u32 s26, 7
	s_cbranch_scc1 .LBB4_94
; %bb.91:                               ;   in Loop: Header=BB4_43 Depth=1
	s_cmp_eq_u32 s26, 0
	s_cbranch_scc1 .LBB4_95
; %bb.92:                               ;   in Loop: Header=BB4_43 Depth=1
	v_mov_b32_e32 v20, 0
	s_mov_b64 s[22:23], 0
	v_mov_b32_e32 v21, 0
	s_mov_b64 s[24:25], s[4:5]
.LBB4_93:                               ;   Parent Loop BB4_43 Depth=1
                                        ; =>  This Inner Loop Header: Depth=2
	global_load_ubyte v6, v26, s[24:25]
	s_add_i32 s26, s26, -1
	s_waitcnt vmcnt(0)
	v_and_b32_e32 v25, 0xffff, v6
	v_lshlrev_b64 v[6:7], s22, v[25:26]
	s_add_u32 s22, s22, 8
	s_addc_u32 s23, s23, 0
	s_add_u32 s24, s24, 1
	s_addc_u32 s25, s25, 0
	v_or_b32_e32 v20, v6, v20
	s_cmp_lg_u32 s26, 0
	v_or_b32_e32 v21, v7, v21
	s_cbranch_scc1 .LBB4_93
	s_branch .LBB4_96
.LBB4_94:                               ;   in Loop: Header=BB4_43 Depth=1
	s_branch .LBB4_97
.LBB4_95:                               ;   in Loop: Header=BB4_43 Depth=1
	v_mov_b32_e32 v20, 0
	v_mov_b32_e32 v21, 0
.LBB4_96:                               ;   in Loop: Header=BB4_43 Depth=1
	s_cbranch_execnz .LBB4_98
.LBB4_97:                               ;   in Loop: Header=BB4_43 Depth=1
	global_load_dwordx2 v[20:21], v26, s[4:5]
.LBB4_98:                               ;   in Loop: Header=BB4_43 Depth=1
	v_readfirstlane_b32 s4, v32
	v_mov_b32_e32 v6, 0
	v_mov_b32_e32 v7, 0
	v_cmp_eq_u32_e64 s[4:5], s4, v32
	s_and_saveexec_b64 s[22:23], s[4:5]
	s_cbranch_execz .LBB4_104
; %bb.99:                               ;   in Loop: Header=BB4_43 Depth=1
	global_load_dwordx2 v[24:25], v26, s[6:7] offset:24 glc
	s_waitcnt vmcnt(0)
	buffer_wbinvl1_vol
	global_load_dwordx2 v[6:7], v26, s[6:7] offset:40
	global_load_dwordx2 v[22:23], v26, s[6:7]
	s_waitcnt vmcnt(1)
	v_and_b32_e32 v6, v6, v24
	v_and_b32_e32 v7, v7, v25
	v_mul_lo_u32 v7, v7, 24
	v_mul_hi_u32 v27, v6, 24
	v_mul_lo_u32 v6, v6, 24
	v_add_u32_e32 v7, v27, v7
	s_waitcnt vmcnt(0)
	v_add_co_u32_e32 v6, vcc, v22, v6
	v_addc_co_u32_e32 v7, vcc, v23, v7, vcc
	global_load_dwordx2 v[22:23], v[6:7], off glc
	s_waitcnt vmcnt(0)
	global_atomic_cmpswap_x2 v[6:7], v26, v[22:25], s[6:7] offset:24 glc
	s_waitcnt vmcnt(0)
	buffer_wbinvl1_vol
	v_cmp_ne_u64_e32 vcc, v[6:7], v[24:25]
	s_and_saveexec_b64 s[24:25], vcc
	s_cbranch_execz .LBB4_103
; %bb.100:                              ;   in Loop: Header=BB4_43 Depth=1
	s_mov_b64 s[26:27], 0
.LBB4_101:                              ;   Parent Loop BB4_43 Depth=1
                                        ; =>  This Inner Loop Header: Depth=2
	s_sleep 1
	global_load_dwordx2 v[22:23], v26, s[6:7] offset:40
	global_load_dwordx2 v[27:28], v26, s[6:7]
	v_mov_b32_e32 v25, v7
	v_mov_b32_e32 v24, v6
	s_waitcnt vmcnt(1)
	v_and_b32_e32 v6, v22, v24
	s_waitcnt vmcnt(0)
	v_mad_u64_u32 v[6:7], s[28:29], v6, 24, v[27:28]
	v_and_b32_e32 v22, v23, v25
	v_mad_u64_u32 v[22:23], s[28:29], v22, 24, v[7:8]
	v_mov_b32_e32 v7, v22
	global_load_dwordx2 v[22:23], v[6:7], off glc
	s_waitcnt vmcnt(0)
	global_atomic_cmpswap_x2 v[6:7], v26, v[22:25], s[6:7] offset:24 glc
	s_waitcnt vmcnt(0)
	buffer_wbinvl1_vol
	v_cmp_eq_u64_e32 vcc, v[6:7], v[24:25]
	s_or_b64 s[26:27], vcc, s[26:27]
	s_andn2_b64 exec, exec, s[26:27]
	s_cbranch_execnz .LBB4_101
; %bb.102:                              ;   in Loop: Header=BB4_43 Depth=1
	s_or_b64 exec, exec, s[26:27]
.LBB4_103:                              ;   in Loop: Header=BB4_43 Depth=1
	s_or_b64 exec, exec, s[24:25]
.LBB4_104:                              ;   in Loop: Header=BB4_43 Depth=1
	s_or_b64 exec, exec, s[22:23]
	global_load_dwordx2 v[27:28], v26, s[6:7] offset:40
	global_load_dwordx4 v[22:25], v26, s[6:7]
	v_readfirstlane_b32 s22, v6
	v_readfirstlane_b32 s23, v7
	s_mov_b64 s[24:25], exec
	s_waitcnt vmcnt(1)
	v_readfirstlane_b32 s26, v27
	v_readfirstlane_b32 s27, v28
	s_and_b64 s[26:27], s[22:23], s[26:27]
	s_mul_i32 s15, s27, 24
	s_mul_hi_u32 s28, s26, 24
	s_mul_i32 s29, s26, 24
	s_add_i32 s15, s28, s15
	v_mov_b32_e32 v6, s15
	s_waitcnt vmcnt(0)
	v_add_co_u32_e32 v27, vcc, s29, v22
	v_addc_co_u32_e32 v28, vcc, v23, v6, vcc
	s_and_saveexec_b64 s[28:29], s[4:5]
	s_cbranch_execz .LBB4_106
; %bb.105:                              ;   in Loop: Header=BB4_43 Depth=1
	v_mov_b32_e32 v6, s24
	v_mov_b32_e32 v7, s25
	global_store_dwordx4 v[27:28], v[6:9], off offset:8
.LBB4_106:                              ;   in Loop: Header=BB4_43 Depth=1
	s_or_b64 exec, exec, s[28:29]
	s_lshl_b64 s[24:25], s[26:27], 12
	v_mov_b32_e32 v6, s25
	v_add_co_u32_e32 v24, vcc, s24, v24
	v_addc_co_u32_e32 v30, vcc, v25, v6, vcc
	v_cmp_gt_u64_e64 vcc, s[18:19], 56
	v_or_b32_e32 v7, v0, v29
	s_lshl_b32 s15, s20, 2
	v_cndmask_b32_e32 v0, v7, v0, vcc
	s_add_i32 s15, s15, 28
	v_or_b32_e32 v6, 0, v1
	s_and_b32 s15, s15, 0x1e0
	v_and_b32_e32 v0, 0xffffff1f, v0
	v_cndmask_b32_e32 v1, v6, v1, vcc
	v_or_b32_e32 v0, s15, v0
	v_readfirstlane_b32 s24, v24
	v_readfirstlane_b32 s25, v30
	s_nop 4
	global_store_dwordx4 v31, v[0:3], s[24:25]
	global_store_dwordx4 v31, v[10:13], s[24:25] offset:16
	global_store_dwordx4 v31, v[14:17], s[24:25] offset:32
	;; [unrolled: 1-line block ×3, first 2 shown]
	s_and_saveexec_b64 s[24:25], s[4:5]
	s_cbranch_execz .LBB4_114
; %bb.107:                              ;   in Loop: Header=BB4_43 Depth=1
	global_load_dwordx2 v[12:13], v26, s[6:7] offset:32 glc
	global_load_dwordx2 v[0:1], v26, s[6:7] offset:40
	v_mov_b32_e32 v10, s22
	v_mov_b32_e32 v11, s23
	s_waitcnt vmcnt(0)
	v_readfirstlane_b32 s26, v0
	v_readfirstlane_b32 s27, v1
	s_and_b64 s[26:27], s[26:27], s[22:23]
	s_mul_i32 s15, s27, 24
	s_mul_hi_u32 s27, s26, 24
	s_mul_i32 s26, s26, 24
	s_add_i32 s15, s27, s15
	v_mov_b32_e32 v0, s15
	v_add_co_u32_e32 v6, vcc, s26, v22
	v_addc_co_u32_e32 v7, vcc, v23, v0, vcc
	global_store_dwordx2 v[6:7], v[12:13], off
	s_waitcnt vmcnt(0)
	global_atomic_cmpswap_x2 v[2:3], v26, v[10:13], s[6:7] offset:32 glc
	s_waitcnt vmcnt(0)
	v_cmp_ne_u64_e32 vcc, v[2:3], v[12:13]
	s_and_saveexec_b64 s[26:27], vcc
	s_cbranch_execz .LBB4_110
; %bb.108:                              ;   in Loop: Header=BB4_43 Depth=1
	s_mov_b64 s[28:29], 0
.LBB4_109:                              ;   Parent Loop BB4_43 Depth=1
                                        ; =>  This Inner Loop Header: Depth=2
	s_sleep 1
	global_store_dwordx2 v[6:7], v[2:3], off
	v_mov_b32_e32 v0, s22
	v_mov_b32_e32 v1, s23
	s_waitcnt vmcnt(0)
	global_atomic_cmpswap_x2 v[0:1], v26, v[0:3], s[6:7] offset:32 glc
	s_waitcnt vmcnt(0)
	v_cmp_eq_u64_e32 vcc, v[0:1], v[2:3]
	v_mov_b32_e32 v3, v1
	s_or_b64 s[28:29], vcc, s[28:29]
	v_mov_b32_e32 v2, v0
	s_andn2_b64 exec, exec, s[28:29]
	s_cbranch_execnz .LBB4_109
.LBB4_110:                              ;   in Loop: Header=BB4_43 Depth=1
	s_or_b64 exec, exec, s[26:27]
	global_load_dwordx2 v[0:1], v26, s[6:7] offset:16
	s_mov_b64 s[28:29], exec
	v_mbcnt_lo_u32_b32 v2, s28, 0
	v_mbcnt_hi_u32_b32 v2, s29, v2
	v_cmp_eq_u32_e32 vcc, 0, v2
	s_and_saveexec_b64 s[26:27], vcc
	s_cbranch_execz .LBB4_112
; %bb.111:                              ;   in Loop: Header=BB4_43 Depth=1
	s_bcnt1_i32_b64 s15, s[28:29]
	v_mov_b32_e32 v25, s15
	s_waitcnt vmcnt(0)
	global_atomic_add_x2 v[0:1], v[25:26], off offset:8
.LBB4_112:                              ;   in Loop: Header=BB4_43 Depth=1
	s_or_b64 exec, exec, s[26:27]
	s_waitcnt vmcnt(0)
	global_load_dwordx2 v[2:3], v[0:1], off offset:16
	s_waitcnt vmcnt(0)
	v_cmp_eq_u64_e32 vcc, 0, v[2:3]
	s_cbranch_vccnz .LBB4_114
; %bb.113:                              ;   in Loop: Header=BB4_43 Depth=1
	global_load_dword v25, v[0:1], off offset:24
	s_waitcnt vmcnt(0)
	v_and_b32_e32 v0, 0xffffff, v25
	v_readfirstlane_b32 m0, v0
	global_store_dwordx2 v[2:3], v[25:26], off
	s_sendmsg sendmsg(MSG_INTERRUPT)
.LBB4_114:                              ;   in Loop: Header=BB4_43 Depth=1
	s_or_b64 exec, exec, s[24:25]
	v_add_co_u32_e32 v0, vcc, v24, v31
	v_addc_co_u32_e32 v1, vcc, 0, v30, vcc
	s_branch .LBB4_118
.LBB4_115:                              ;   in Loop: Header=BB4_118 Depth=2
	s_or_b64 exec, exec, s[24:25]
	v_readfirstlane_b32 s15, v2
	s_cmp_eq_u32 s15, 0
	s_cbranch_scc1 .LBB4_117
; %bb.116:                              ;   in Loop: Header=BB4_118 Depth=2
	s_sleep 1
	s_cbranch_execnz .LBB4_118
	s_branch .LBB4_120
.LBB4_117:                              ;   in Loop: Header=BB4_43 Depth=1
	s_branch .LBB4_120
.LBB4_118:                              ;   Parent Loop BB4_43 Depth=1
                                        ; =>  This Inner Loop Header: Depth=2
	v_mov_b32_e32 v2, 1
	s_and_saveexec_b64 s[24:25], s[4:5]
	s_cbranch_execz .LBB4_115
; %bb.119:                              ;   in Loop: Header=BB4_118 Depth=2
	global_load_dword v2, v[27:28], off offset:20 glc
	s_waitcnt vmcnt(0)
	buffer_wbinvl1_vol
	v_and_b32_e32 v2, 1, v2
	s_branch .LBB4_115
.LBB4_120:                              ;   in Loop: Header=BB4_43 Depth=1
	global_load_dwordx4 v[0:3], v[0:1], off
	s_and_saveexec_b64 s[24:25], s[4:5]
	s_cbranch_execz .LBB4_42
; %bb.121:                              ;   in Loop: Header=BB4_43 Depth=1
	global_load_dwordx2 v[2:3], v26, s[6:7] offset:40
	global_load_dwordx2 v[6:7], v26, s[6:7] offset:24 glc
	global_load_dwordx2 v[13:14], v26, s[6:7]
	v_mov_b32_e32 v11, s23
	s_waitcnt vmcnt(2)
	v_add_co_u32_e32 v12, vcc, 1, v2
	v_addc_co_u32_e32 v15, vcc, 0, v3, vcc
	v_add_co_u32_e32 v10, vcc, s22, v12
	v_addc_co_u32_e32 v11, vcc, v15, v11, vcc
	v_cmp_eq_u64_e32 vcc, 0, v[10:11]
	v_cndmask_b32_e32 v11, v11, v15, vcc
	v_cndmask_b32_e32 v10, v10, v12, vcc
	v_and_b32_e32 v3, v11, v3
	v_and_b32_e32 v2, v10, v2
	v_mul_lo_u32 v3, v3, 24
	v_mul_hi_u32 v15, v2, 24
	v_mul_lo_u32 v2, v2, 24
	s_waitcnt vmcnt(1)
	v_mov_b32_e32 v12, v6
	v_add_u32_e32 v3, v15, v3
	s_waitcnt vmcnt(0)
	v_add_co_u32_e32 v2, vcc, v13, v2
	v_addc_co_u32_e32 v3, vcc, v14, v3, vcc
	global_store_dwordx2 v[2:3], v[6:7], off
	v_mov_b32_e32 v13, v7
	s_waitcnt vmcnt(0)
	global_atomic_cmpswap_x2 v[12:13], v26, v[10:13], s[6:7] offset:24 glc
	s_waitcnt vmcnt(0)
	v_cmp_ne_u64_e32 vcc, v[12:13], v[6:7]
	s_and_b64 exec, exec, vcc
	s_cbranch_execz .LBB4_42
; %bb.122:                              ;   in Loop: Header=BB4_43 Depth=1
	s_mov_b64 s[4:5], 0
.LBB4_123:                              ;   Parent Loop BB4_43 Depth=1
                                        ; =>  This Inner Loop Header: Depth=2
	s_sleep 1
	global_store_dwordx2 v[2:3], v[12:13], off
	s_waitcnt vmcnt(0)
	global_atomic_cmpswap_x2 v[6:7], v26, v[10:13], s[6:7] offset:24 glc
	s_waitcnt vmcnt(0)
	v_cmp_eq_u64_e32 vcc, v[6:7], v[12:13]
	v_mov_b32_e32 v13, v7
	s_or_b64 s[4:5], vcc, s[4:5]
	v_mov_b32_e32 v12, v6
	s_andn2_b64 exec, exec, s[4:5]
	s_cbranch_execnz .LBB4_123
	s_branch .LBB4_42
.LBB4_124:
	s_branch .LBB4_152
.LBB4_125:
                                        ; implicit-def: $vgpr0_vgpr1
	s_cbranch_execz .LBB4_152
; %bb.126:
	v_readfirstlane_b32 s4, v32
	v_mov_b32_e32 v7, 0
	v_mov_b32_e32 v8, 0
	v_cmp_eq_u32_e64 s[4:5], s4, v32
	s_and_saveexec_b64 s[16:17], s[4:5]
	s_cbranch_execz .LBB4_132
; %bb.127:
	s_waitcnt vmcnt(0)
	v_mov_b32_e32 v0, 0
	global_load_dwordx2 v[9:10], v0, s[6:7] offset:24 glc
	s_waitcnt vmcnt(0)
	buffer_wbinvl1_vol
	global_load_dwordx2 v[1:2], v0, s[6:7] offset:40
	global_load_dwordx2 v[6:7], v0, s[6:7]
	s_waitcnt vmcnt(1)
	v_and_b32_e32 v1, v1, v9
	v_and_b32_e32 v2, v2, v10
	v_mul_lo_u32 v2, v2, 24
	v_mul_hi_u32 v3, v1, 24
	v_mul_lo_u32 v1, v1, 24
	v_add_u32_e32 v2, v3, v2
	s_waitcnt vmcnt(0)
	v_add_co_u32_e32 v1, vcc, v6, v1
	v_addc_co_u32_e32 v2, vcc, v7, v2, vcc
	global_load_dwordx2 v[7:8], v[1:2], off glc
	s_waitcnt vmcnt(0)
	global_atomic_cmpswap_x2 v[7:8], v0, v[7:10], s[6:7] offset:24 glc
	s_waitcnt vmcnt(0)
	buffer_wbinvl1_vol
	v_cmp_ne_u64_e32 vcc, v[7:8], v[9:10]
	s_and_saveexec_b64 s[18:19], vcc
	s_cbranch_execz .LBB4_131
; %bb.128:
	s_mov_b64 s[20:21], 0
.LBB4_129:                              ; =>This Inner Loop Header: Depth=1
	s_sleep 1
	global_load_dwordx2 v[1:2], v0, s[6:7] offset:40
	global_load_dwordx2 v[11:12], v0, s[6:7]
	v_mov_b32_e32 v10, v8
	v_mov_b32_e32 v9, v7
	s_waitcnt vmcnt(1)
	v_and_b32_e32 v1, v1, v9
	s_waitcnt vmcnt(0)
	v_mad_u64_u32 v[6:7], s[22:23], v1, 24, v[11:12]
	v_and_b32_e32 v2, v2, v10
	v_mov_b32_e32 v1, v7
	v_mad_u64_u32 v[1:2], s[22:23], v2, 24, v[1:2]
	v_mov_b32_e32 v7, v1
	global_load_dwordx2 v[7:8], v[6:7], off glc
	s_waitcnt vmcnt(0)
	global_atomic_cmpswap_x2 v[7:8], v0, v[7:10], s[6:7] offset:24 glc
	s_waitcnt vmcnt(0)
	buffer_wbinvl1_vol
	v_cmp_eq_u64_e32 vcc, v[7:8], v[9:10]
	s_or_b64 s[20:21], vcc, s[20:21]
	s_andn2_b64 exec, exec, s[20:21]
	s_cbranch_execnz .LBB4_129
; %bb.130:
	s_or_b64 exec, exec, s[20:21]
.LBB4_131:
	s_or_b64 exec, exec, s[18:19]
.LBB4_132:
	s_or_b64 exec, exec, s[16:17]
	v_mov_b32_e32 v6, 0
	global_load_dwordx2 v[9:10], v6, s[6:7] offset:40
	global_load_dwordx4 v[0:3], v6, s[6:7]
	v_readfirstlane_b32 s16, v7
	v_readfirstlane_b32 s17, v8
	s_mov_b64 s[18:19], exec
	s_waitcnt vmcnt(1)
	v_readfirstlane_b32 s20, v9
	v_readfirstlane_b32 s21, v10
	s_and_b64 s[20:21], s[16:17], s[20:21]
	s_mul_i32 s15, s21, 24
	s_mul_hi_u32 s22, s20, 24
	s_mul_i32 s23, s20, 24
	s_add_i32 s15, s22, s15
	v_mov_b32_e32 v7, s15
	s_waitcnt vmcnt(0)
	v_add_co_u32_e32 v8, vcc, s23, v0
	v_addc_co_u32_e32 v9, vcc, v1, v7, vcc
	s_and_saveexec_b64 s[22:23], s[4:5]
	s_cbranch_execz .LBB4_134
; %bb.133:
	v_mov_b32_e32 v10, s18
	v_mov_b32_e32 v11, s19
	;; [unrolled: 1-line block ×4, first 2 shown]
	global_store_dwordx4 v[8:9], v[10:13], off offset:8
.LBB4_134:
	s_or_b64 exec, exec, s[22:23]
	s_lshl_b64 s[18:19], s[20:21], 12
	v_mov_b32_e32 v7, s19
	v_add_co_u32_e32 v2, vcc, s18, v2
	v_addc_co_u32_e32 v3, vcc, v3, v7, vcc
	s_movk_i32 s15, 0xff1f
	v_and_or_b32 v4, v4, s15, 32
	v_add_co_u32_e32 v10, vcc, v2, v31
	s_mov_b32 s20, 0
	v_mov_b32_e32 v7, v6
	v_readfirstlane_b32 s18, v2
	v_readfirstlane_b32 s19, v3
	v_addc_co_u32_e32 v11, vcc, 0, v3, vcc
	s_mov_b32 s21, s20
	s_mov_b32 s22, s20
	;; [unrolled: 1-line block ×3, first 2 shown]
	s_nop 0
	global_store_dwordx4 v31, v[4:7], s[18:19]
	v_mov_b32_e32 v2, s20
	v_mov_b32_e32 v3, s21
	;; [unrolled: 1-line block ×4, first 2 shown]
	global_store_dwordx4 v31, v[2:5], s[18:19] offset:16
	global_store_dwordx4 v31, v[2:5], s[18:19] offset:32
	;; [unrolled: 1-line block ×3, first 2 shown]
	s_and_saveexec_b64 s[18:19], s[4:5]
	s_cbranch_execz .LBB4_142
; %bb.135:
	v_mov_b32_e32 v6, 0
	global_load_dwordx2 v[14:15], v6, s[6:7] offset:32 glc
	global_load_dwordx2 v[2:3], v6, s[6:7] offset:40
	v_mov_b32_e32 v12, s16
	v_mov_b32_e32 v13, s17
	s_waitcnt vmcnt(0)
	v_readfirstlane_b32 s20, v2
	v_readfirstlane_b32 s21, v3
	s_and_b64 s[20:21], s[20:21], s[16:17]
	s_mul_i32 s15, s21, 24
	s_mul_hi_u32 s21, s20, 24
	s_mul_i32 s20, s20, 24
	s_add_i32 s15, s21, s15
	v_mov_b32_e32 v2, s15
	v_add_co_u32_e32 v4, vcc, s20, v0
	v_addc_co_u32_e32 v5, vcc, v1, v2, vcc
	global_store_dwordx2 v[4:5], v[14:15], off
	s_waitcnt vmcnt(0)
	global_atomic_cmpswap_x2 v[2:3], v6, v[12:15], s[6:7] offset:32 glc
	s_waitcnt vmcnt(0)
	v_cmp_ne_u64_e32 vcc, v[2:3], v[14:15]
	s_and_saveexec_b64 s[20:21], vcc
	s_cbranch_execz .LBB4_138
; %bb.136:
	s_mov_b64 s[22:23], 0
.LBB4_137:                              ; =>This Inner Loop Header: Depth=1
	s_sleep 1
	global_store_dwordx2 v[4:5], v[2:3], off
	v_mov_b32_e32 v0, s16
	v_mov_b32_e32 v1, s17
	s_waitcnt vmcnt(0)
	global_atomic_cmpswap_x2 v[0:1], v6, v[0:3], s[6:7] offset:32 glc
	s_waitcnt vmcnt(0)
	v_cmp_eq_u64_e32 vcc, v[0:1], v[2:3]
	v_mov_b32_e32 v3, v1
	s_or_b64 s[22:23], vcc, s[22:23]
	v_mov_b32_e32 v2, v0
	s_andn2_b64 exec, exec, s[22:23]
	s_cbranch_execnz .LBB4_137
.LBB4_138:
	s_or_b64 exec, exec, s[20:21]
	v_mov_b32_e32 v3, 0
	global_load_dwordx2 v[0:1], v3, s[6:7] offset:16
	s_mov_b64 s[20:21], exec
	v_mbcnt_lo_u32_b32 v2, s20, 0
	v_mbcnt_hi_u32_b32 v2, s21, v2
	v_cmp_eq_u32_e32 vcc, 0, v2
	s_and_saveexec_b64 s[22:23], vcc
	s_cbranch_execz .LBB4_140
; %bb.139:
	s_bcnt1_i32_b64 s15, s[20:21]
	v_mov_b32_e32 v2, s15
	s_waitcnt vmcnt(0)
	global_atomic_add_x2 v[0:1], v[2:3], off offset:8
.LBB4_140:
	s_or_b64 exec, exec, s[22:23]
	s_waitcnt vmcnt(0)
	global_load_dwordx2 v[2:3], v[0:1], off offset:16
	s_waitcnt vmcnt(0)
	v_cmp_eq_u64_e32 vcc, 0, v[2:3]
	s_cbranch_vccnz .LBB4_142
; %bb.141:
	global_load_dword v0, v[0:1], off offset:24
	v_mov_b32_e32 v1, 0
	s_waitcnt vmcnt(0)
	global_store_dwordx2 v[2:3], v[0:1], off
	v_and_b32_e32 v0, 0xffffff, v0
	v_readfirstlane_b32 m0, v0
	s_sendmsg sendmsg(MSG_INTERRUPT)
.LBB4_142:
	s_or_b64 exec, exec, s[18:19]
	s_branch .LBB4_146
.LBB4_143:                              ;   in Loop: Header=BB4_146 Depth=1
	s_or_b64 exec, exec, s[18:19]
	v_readfirstlane_b32 s15, v0
	s_cmp_eq_u32 s15, 0
	s_cbranch_scc1 .LBB4_145
; %bb.144:                              ;   in Loop: Header=BB4_146 Depth=1
	s_sleep 1
	s_cbranch_execnz .LBB4_146
	s_branch .LBB4_148
.LBB4_145:
	s_branch .LBB4_148
.LBB4_146:                              ; =>This Inner Loop Header: Depth=1
	v_mov_b32_e32 v0, 1
	s_and_saveexec_b64 s[18:19], s[4:5]
	s_cbranch_execz .LBB4_143
; %bb.147:                              ;   in Loop: Header=BB4_146 Depth=1
	global_load_dword v0, v[8:9], off offset:20 glc
	s_waitcnt vmcnt(0)
	buffer_wbinvl1_vol
	v_and_b32_e32 v0, 1, v0
	s_branch .LBB4_143
.LBB4_148:
	global_load_dwordx2 v[0:1], v[10:11], off
	s_and_saveexec_b64 s[18:19], s[4:5]
	s_cbranch_execz .LBB4_151
; %bb.149:
	v_mov_b32_e32 v8, 0
	global_load_dwordx2 v[4:5], v8, s[6:7] offset:40
	global_load_dwordx2 v[9:10], v8, s[6:7] offset:24 glc
	global_load_dwordx2 v[6:7], v8, s[6:7]
	v_mov_b32_e32 v3, s17
	s_mov_b64 s[4:5], 0
	s_waitcnt vmcnt(2)
	v_add_co_u32_e32 v11, vcc, 1, v4
	v_addc_co_u32_e32 v12, vcc, 0, v5, vcc
	v_add_co_u32_e32 v2, vcc, s16, v11
	v_addc_co_u32_e32 v3, vcc, v12, v3, vcc
	v_cmp_eq_u64_e32 vcc, 0, v[2:3]
	v_cndmask_b32_e32 v3, v3, v12, vcc
	v_cndmask_b32_e32 v2, v2, v11, vcc
	v_and_b32_e32 v5, v3, v5
	v_and_b32_e32 v4, v2, v4
	v_mul_lo_u32 v5, v5, 24
	v_mul_hi_u32 v11, v4, 24
	v_mul_lo_u32 v12, v4, 24
	s_waitcnt vmcnt(1)
	v_mov_b32_e32 v4, v9
	v_add_u32_e32 v5, v11, v5
	s_waitcnt vmcnt(0)
	v_add_co_u32_e32 v6, vcc, v6, v12
	v_addc_co_u32_e32 v7, vcc, v7, v5, vcc
	global_store_dwordx2 v[6:7], v[9:10], off
	v_mov_b32_e32 v5, v10
	s_waitcnt vmcnt(0)
	global_atomic_cmpswap_x2 v[4:5], v8, v[2:5], s[6:7] offset:24 glc
	s_waitcnt vmcnt(0)
	v_cmp_ne_u64_e32 vcc, v[4:5], v[9:10]
	s_and_b64 exec, exec, vcc
	s_cbranch_execz .LBB4_151
.LBB4_150:                              ; =>This Inner Loop Header: Depth=1
	s_sleep 1
	global_store_dwordx2 v[6:7], v[4:5], off
	s_waitcnt vmcnt(0)
	global_atomic_cmpswap_x2 v[9:10], v8, v[2:5], s[6:7] offset:24 glc
	s_waitcnt vmcnt(0)
	v_cmp_eq_u64_e32 vcc, v[9:10], v[4:5]
	v_mov_b32_e32 v4, v9
	s_or_b64 s[4:5], vcc, s[4:5]
	v_mov_b32_e32 v5, v10
	s_andn2_b64 exec, exec, s[4:5]
	s_cbranch_execnz .LBB4_150
.LBB4_151:
	s_or_b64 exec, exec, s[18:19]
.LBB4_152:
	s_getpc_b64 s[16:17]
	s_add_u32 s16, s16, __PRETTY_FUNCTION__._ZL16merge_duplicatesRN8migraphx4test12test_managerE@rel32@lo+4
	s_addc_u32 s17, s17, __PRETTY_FUNCTION__._ZL16merge_duplicatesRN8migraphx4test12test_managerE@rel32@hi+12
	s_cmp_lg_u64 s[16:17], 0
	s_cbranch_scc0 .LBB4_237
; %bb.153:
	s_waitcnt vmcnt(0)
	v_and_b32_e32 v6, -3, v0
	v_mov_b32_e32 v7, v1
	s_mov_b64 s[18:19], 54
	v_mov_b32_e32 v26, 0
	v_mov_b32_e32 v4, 2
	;; [unrolled: 1-line block ×3, first 2 shown]
	s_branch .LBB4_155
.LBB4_154:                              ;   in Loop: Header=BB4_155 Depth=1
	s_or_b64 exec, exec, s[24:25]
	s_sub_u32 s18, s18, s20
	s_subb_u32 s19, s19, s21
	s_add_u32 s16, s16, s20
	s_addc_u32 s17, s17, s21
	s_cmp_lg_u64 s[18:19], 0
	s_cbranch_scc0 .LBB4_236
.LBB4_155:                              ; =>This Loop Header: Depth=1
                                        ;     Child Loop BB4_158 Depth 2
                                        ;     Child Loop BB4_165 Depth 2
	;; [unrolled: 1-line block ×11, first 2 shown]
	v_cmp_lt_u64_e64 s[4:5], s[18:19], 56
	v_cmp_gt_u64_e64 s[22:23], s[18:19], 7
	s_and_b64 s[4:5], s[4:5], exec
	s_cselect_b32 s21, s19, 0
	s_cselect_b32 s20, s18, 56
	s_and_b64 vcc, exec, s[22:23]
	s_cbranch_vccnz .LBB4_160
; %bb.156:                              ;   in Loop: Header=BB4_155 Depth=1
	s_waitcnt vmcnt(0)
	v_mov_b32_e32 v8, 0
	s_cmp_eq_u64 s[18:19], 0
	v_mov_b32_e32 v9, 0
	s_mov_b64 s[4:5], 0
	s_cbranch_scc1 .LBB4_159
; %bb.157:                              ;   in Loop: Header=BB4_155 Depth=1
	v_mov_b32_e32 v8, 0
	s_lshl_b64 s[22:23], s[20:21], 3
	s_mov_b64 s[24:25], 0
	v_mov_b32_e32 v9, 0
	s_mov_b64 s[26:27], s[16:17]
.LBB4_158:                              ;   Parent Loop BB4_155 Depth=1
                                        ; =>  This Inner Loop Header: Depth=2
	global_load_ubyte v2, v26, s[26:27]
	s_waitcnt vmcnt(0)
	v_and_b32_e32 v25, 0xffff, v2
	v_lshlrev_b64 v[2:3], s24, v[25:26]
	s_add_u32 s24, s24, 8
	s_addc_u32 s25, s25, 0
	s_add_u32 s26, s26, 1
	s_addc_u32 s27, s27, 0
	v_or_b32_e32 v8, v2, v8
	s_cmp_lg_u32 s22, s24
	v_or_b32_e32 v9, v3, v9
	s_cbranch_scc1 .LBB4_158
.LBB4_159:                              ;   in Loop: Header=BB4_155 Depth=1
	s_mov_b32 s15, 0
	s_andn2_b64 vcc, exec, s[4:5]
	s_mov_b64 s[4:5], s[16:17]
	s_cbranch_vccz .LBB4_161
	s_branch .LBB4_162
.LBB4_160:                              ;   in Loop: Header=BB4_155 Depth=1
                                        ; implicit-def: $sgpr15
	s_mov_b64 s[4:5], s[16:17]
.LBB4_161:                              ;   in Loop: Header=BB4_155 Depth=1
	global_load_dwordx2 v[8:9], v26, s[16:17]
	s_add_i32 s15, s20, -8
	s_add_u32 s4, s16, 8
	s_addc_u32 s5, s17, 0
.LBB4_162:                              ;   in Loop: Header=BB4_155 Depth=1
	s_cmp_gt_u32 s15, 7
	s_cbranch_scc1 .LBB4_166
; %bb.163:                              ;   in Loop: Header=BB4_155 Depth=1
	s_cmp_eq_u32 s15, 0
	s_cbranch_scc1 .LBB4_167
; %bb.164:                              ;   in Loop: Header=BB4_155 Depth=1
	v_mov_b32_e32 v10, 0
	s_mov_b64 s[22:23], 0
	v_mov_b32_e32 v11, 0
	s_mov_b64 s[24:25], 0
.LBB4_165:                              ;   Parent Loop BB4_155 Depth=1
                                        ; =>  This Inner Loop Header: Depth=2
	s_add_u32 s26, s4, s24
	s_addc_u32 s27, s5, s25
	global_load_ubyte v2, v26, s[26:27]
	s_add_u32 s24, s24, 1
	s_addc_u32 s25, s25, 0
	s_waitcnt vmcnt(0)
	v_and_b32_e32 v25, 0xffff, v2
	v_lshlrev_b64 v[2:3], s22, v[25:26]
	s_add_u32 s22, s22, 8
	s_addc_u32 s23, s23, 0
	v_or_b32_e32 v10, v2, v10
	s_cmp_lg_u32 s15, s24
	v_or_b32_e32 v11, v3, v11
	s_cbranch_scc1 .LBB4_165
	s_branch .LBB4_168
.LBB4_166:                              ;   in Loop: Header=BB4_155 Depth=1
                                        ; implicit-def: $vgpr10_vgpr11
                                        ; implicit-def: $sgpr26
	s_branch .LBB4_169
.LBB4_167:                              ;   in Loop: Header=BB4_155 Depth=1
	v_mov_b32_e32 v10, 0
	v_mov_b32_e32 v11, 0
.LBB4_168:                              ;   in Loop: Header=BB4_155 Depth=1
	s_mov_b32 s26, 0
	s_cbranch_execnz .LBB4_170
.LBB4_169:                              ;   in Loop: Header=BB4_155 Depth=1
	global_load_dwordx2 v[10:11], v26, s[4:5]
	s_add_i32 s26, s15, -8
	s_add_u32 s4, s4, 8
	s_addc_u32 s5, s5, 0
.LBB4_170:                              ;   in Loop: Header=BB4_155 Depth=1
	s_cmp_gt_u32 s26, 7
	s_cbranch_scc1 .LBB4_174
; %bb.171:                              ;   in Loop: Header=BB4_155 Depth=1
	s_cmp_eq_u32 s26, 0
	s_cbranch_scc1 .LBB4_175
; %bb.172:                              ;   in Loop: Header=BB4_155 Depth=1
	v_mov_b32_e32 v12, 0
	s_mov_b64 s[22:23], 0
	v_mov_b32_e32 v13, 0
	s_mov_b64 s[24:25], 0
.LBB4_173:                              ;   Parent Loop BB4_155 Depth=1
                                        ; =>  This Inner Loop Header: Depth=2
	s_add_u32 s28, s4, s24
	s_addc_u32 s29, s5, s25
	global_load_ubyte v2, v26, s[28:29]
	s_add_u32 s24, s24, 1
	s_addc_u32 s25, s25, 0
	s_waitcnt vmcnt(0)
	v_and_b32_e32 v25, 0xffff, v2
	v_lshlrev_b64 v[2:3], s22, v[25:26]
	s_add_u32 s22, s22, 8
	s_addc_u32 s23, s23, 0
	v_or_b32_e32 v12, v2, v12
	s_cmp_lg_u32 s26, s24
	v_or_b32_e32 v13, v3, v13
	s_cbranch_scc1 .LBB4_173
	s_branch .LBB4_176
.LBB4_174:                              ;   in Loop: Header=BB4_155 Depth=1
                                        ; implicit-def: $sgpr15
	s_branch .LBB4_177
.LBB4_175:                              ;   in Loop: Header=BB4_155 Depth=1
	v_mov_b32_e32 v12, 0
	v_mov_b32_e32 v13, 0
.LBB4_176:                              ;   in Loop: Header=BB4_155 Depth=1
	s_mov_b32 s15, 0
	s_cbranch_execnz .LBB4_178
.LBB4_177:                              ;   in Loop: Header=BB4_155 Depth=1
	global_load_dwordx2 v[12:13], v26, s[4:5]
	s_add_i32 s15, s26, -8
	s_add_u32 s4, s4, 8
	s_addc_u32 s5, s5, 0
.LBB4_178:                              ;   in Loop: Header=BB4_155 Depth=1
	s_cmp_gt_u32 s15, 7
	s_cbranch_scc1 .LBB4_182
; %bb.179:                              ;   in Loop: Header=BB4_155 Depth=1
	s_cmp_eq_u32 s15, 0
	s_cbranch_scc1 .LBB4_183
; %bb.180:                              ;   in Loop: Header=BB4_155 Depth=1
	v_mov_b32_e32 v14, 0
	s_mov_b64 s[22:23], 0
	v_mov_b32_e32 v15, 0
	s_mov_b64 s[24:25], 0
.LBB4_181:                              ;   Parent Loop BB4_155 Depth=1
                                        ; =>  This Inner Loop Header: Depth=2
	s_add_u32 s26, s4, s24
	s_addc_u32 s27, s5, s25
	global_load_ubyte v2, v26, s[26:27]
	s_add_u32 s24, s24, 1
	s_addc_u32 s25, s25, 0
	s_waitcnt vmcnt(0)
	v_and_b32_e32 v25, 0xffff, v2
	v_lshlrev_b64 v[2:3], s22, v[25:26]
	s_add_u32 s22, s22, 8
	s_addc_u32 s23, s23, 0
	v_or_b32_e32 v14, v2, v14
	s_cmp_lg_u32 s15, s24
	v_or_b32_e32 v15, v3, v15
	s_cbranch_scc1 .LBB4_181
	s_branch .LBB4_184
.LBB4_182:                              ;   in Loop: Header=BB4_155 Depth=1
                                        ; implicit-def: $vgpr14_vgpr15
                                        ; implicit-def: $sgpr26
	s_branch .LBB4_185
.LBB4_183:                              ;   in Loop: Header=BB4_155 Depth=1
	v_mov_b32_e32 v14, 0
	v_mov_b32_e32 v15, 0
.LBB4_184:                              ;   in Loop: Header=BB4_155 Depth=1
	s_mov_b32 s26, 0
	s_cbranch_execnz .LBB4_186
.LBB4_185:                              ;   in Loop: Header=BB4_155 Depth=1
	global_load_dwordx2 v[14:15], v26, s[4:5]
	s_add_i32 s26, s15, -8
	s_add_u32 s4, s4, 8
	s_addc_u32 s5, s5, 0
.LBB4_186:                              ;   in Loop: Header=BB4_155 Depth=1
	s_cmp_gt_u32 s26, 7
	s_cbranch_scc1 .LBB4_190
; %bb.187:                              ;   in Loop: Header=BB4_155 Depth=1
	s_cmp_eq_u32 s26, 0
	s_cbranch_scc1 .LBB4_191
; %bb.188:                              ;   in Loop: Header=BB4_155 Depth=1
	v_mov_b32_e32 v16, 0
	s_mov_b64 s[22:23], 0
	v_mov_b32_e32 v17, 0
	s_mov_b64 s[24:25], 0
.LBB4_189:                              ;   Parent Loop BB4_155 Depth=1
                                        ; =>  This Inner Loop Header: Depth=2
	s_add_u32 s28, s4, s24
	s_addc_u32 s29, s5, s25
	global_load_ubyte v2, v26, s[28:29]
	s_add_u32 s24, s24, 1
	s_addc_u32 s25, s25, 0
	s_waitcnt vmcnt(0)
	v_and_b32_e32 v25, 0xffff, v2
	v_lshlrev_b64 v[2:3], s22, v[25:26]
	s_add_u32 s22, s22, 8
	s_addc_u32 s23, s23, 0
	v_or_b32_e32 v16, v2, v16
	s_cmp_lg_u32 s26, s24
	v_or_b32_e32 v17, v3, v17
	s_cbranch_scc1 .LBB4_189
	s_branch .LBB4_192
.LBB4_190:                              ;   in Loop: Header=BB4_155 Depth=1
                                        ; implicit-def: $sgpr15
	s_branch .LBB4_193
.LBB4_191:                              ;   in Loop: Header=BB4_155 Depth=1
	v_mov_b32_e32 v16, 0
	v_mov_b32_e32 v17, 0
.LBB4_192:                              ;   in Loop: Header=BB4_155 Depth=1
	s_mov_b32 s15, 0
	s_cbranch_execnz .LBB4_194
.LBB4_193:                              ;   in Loop: Header=BB4_155 Depth=1
	global_load_dwordx2 v[16:17], v26, s[4:5]
	s_add_i32 s15, s26, -8
	s_add_u32 s4, s4, 8
	s_addc_u32 s5, s5, 0
.LBB4_194:                              ;   in Loop: Header=BB4_155 Depth=1
	s_cmp_gt_u32 s15, 7
	s_cbranch_scc1 .LBB4_198
; %bb.195:                              ;   in Loop: Header=BB4_155 Depth=1
	s_cmp_eq_u32 s15, 0
	s_cbranch_scc1 .LBB4_199
; %bb.196:                              ;   in Loop: Header=BB4_155 Depth=1
	v_mov_b32_e32 v18, 0
	s_mov_b64 s[22:23], 0
	v_mov_b32_e32 v19, 0
	s_mov_b64 s[24:25], 0
.LBB4_197:                              ;   Parent Loop BB4_155 Depth=1
                                        ; =>  This Inner Loop Header: Depth=2
	s_add_u32 s26, s4, s24
	s_addc_u32 s27, s5, s25
	global_load_ubyte v2, v26, s[26:27]
	s_add_u32 s24, s24, 1
	s_addc_u32 s25, s25, 0
	s_waitcnt vmcnt(0)
	v_and_b32_e32 v25, 0xffff, v2
	v_lshlrev_b64 v[2:3], s22, v[25:26]
	s_add_u32 s22, s22, 8
	s_addc_u32 s23, s23, 0
	v_or_b32_e32 v18, v2, v18
	s_cmp_lg_u32 s15, s24
	v_or_b32_e32 v19, v3, v19
	s_cbranch_scc1 .LBB4_197
	s_branch .LBB4_200
.LBB4_198:                              ;   in Loop: Header=BB4_155 Depth=1
                                        ; implicit-def: $vgpr18_vgpr19
                                        ; implicit-def: $sgpr26
	s_branch .LBB4_201
.LBB4_199:                              ;   in Loop: Header=BB4_155 Depth=1
	v_mov_b32_e32 v18, 0
	v_mov_b32_e32 v19, 0
.LBB4_200:                              ;   in Loop: Header=BB4_155 Depth=1
	s_mov_b32 s26, 0
	s_cbranch_execnz .LBB4_202
.LBB4_201:                              ;   in Loop: Header=BB4_155 Depth=1
	global_load_dwordx2 v[18:19], v26, s[4:5]
	s_add_i32 s26, s15, -8
	s_add_u32 s4, s4, 8
	s_addc_u32 s5, s5, 0
.LBB4_202:                              ;   in Loop: Header=BB4_155 Depth=1
	s_cmp_gt_u32 s26, 7
	s_cbranch_scc1 .LBB4_206
; %bb.203:                              ;   in Loop: Header=BB4_155 Depth=1
	s_cmp_eq_u32 s26, 0
	s_cbranch_scc1 .LBB4_207
; %bb.204:                              ;   in Loop: Header=BB4_155 Depth=1
	v_mov_b32_e32 v20, 0
	s_mov_b64 s[22:23], 0
	v_mov_b32_e32 v21, 0
	s_mov_b64 s[24:25], s[4:5]
.LBB4_205:                              ;   Parent Loop BB4_155 Depth=1
                                        ; =>  This Inner Loop Header: Depth=2
	global_load_ubyte v2, v26, s[24:25]
	s_add_i32 s26, s26, -1
	s_waitcnt vmcnt(0)
	v_and_b32_e32 v25, 0xffff, v2
	v_lshlrev_b64 v[2:3], s22, v[25:26]
	s_add_u32 s22, s22, 8
	s_addc_u32 s23, s23, 0
	s_add_u32 s24, s24, 1
	s_addc_u32 s25, s25, 0
	v_or_b32_e32 v20, v2, v20
	s_cmp_lg_u32 s26, 0
	v_or_b32_e32 v21, v3, v21
	s_cbranch_scc1 .LBB4_205
	s_branch .LBB4_208
.LBB4_206:                              ;   in Loop: Header=BB4_155 Depth=1
	s_branch .LBB4_209
.LBB4_207:                              ;   in Loop: Header=BB4_155 Depth=1
	v_mov_b32_e32 v20, 0
	v_mov_b32_e32 v21, 0
.LBB4_208:                              ;   in Loop: Header=BB4_155 Depth=1
	s_cbranch_execnz .LBB4_210
.LBB4_209:                              ;   in Loop: Header=BB4_155 Depth=1
	global_load_dwordx2 v[20:21], v26, s[4:5]
.LBB4_210:                              ;   in Loop: Header=BB4_155 Depth=1
	v_readfirstlane_b32 s4, v32
	v_mov_b32_e32 v2, 0
	v_mov_b32_e32 v3, 0
	v_cmp_eq_u32_e64 s[4:5], s4, v32
	s_and_saveexec_b64 s[22:23], s[4:5]
	s_cbranch_execz .LBB4_216
; %bb.211:                              ;   in Loop: Header=BB4_155 Depth=1
	global_load_dwordx2 v[24:25], v26, s[6:7] offset:24 glc
	s_waitcnt vmcnt(0)
	buffer_wbinvl1_vol
	global_load_dwordx2 v[2:3], v26, s[6:7] offset:40
	global_load_dwordx2 v[22:23], v26, s[6:7]
	s_waitcnt vmcnt(1)
	v_and_b32_e32 v2, v2, v24
	v_and_b32_e32 v3, v3, v25
	v_mul_lo_u32 v3, v3, 24
	v_mul_hi_u32 v27, v2, 24
	v_mul_lo_u32 v2, v2, 24
	v_add_u32_e32 v3, v27, v3
	s_waitcnt vmcnt(0)
	v_add_co_u32_e32 v2, vcc, v22, v2
	v_addc_co_u32_e32 v3, vcc, v23, v3, vcc
	global_load_dwordx2 v[22:23], v[2:3], off glc
	s_waitcnt vmcnt(0)
	global_atomic_cmpswap_x2 v[2:3], v26, v[22:25], s[6:7] offset:24 glc
	s_waitcnt vmcnt(0)
	buffer_wbinvl1_vol
	v_cmp_ne_u64_e32 vcc, v[2:3], v[24:25]
	s_and_saveexec_b64 s[24:25], vcc
	s_cbranch_execz .LBB4_215
; %bb.212:                              ;   in Loop: Header=BB4_155 Depth=1
	s_mov_b64 s[26:27], 0
.LBB4_213:                              ;   Parent Loop BB4_155 Depth=1
                                        ; =>  This Inner Loop Header: Depth=2
	s_sleep 1
	global_load_dwordx2 v[22:23], v26, s[6:7] offset:40
	global_load_dwordx2 v[27:28], v26, s[6:7]
	v_mov_b32_e32 v25, v3
	v_mov_b32_e32 v24, v2
	s_waitcnt vmcnt(1)
	v_and_b32_e32 v2, v22, v24
	s_waitcnt vmcnt(0)
	v_mad_u64_u32 v[2:3], s[28:29], v2, 24, v[27:28]
	v_and_b32_e32 v22, v23, v25
	v_mad_u64_u32 v[22:23], s[28:29], v22, 24, v[3:4]
	v_mov_b32_e32 v3, v22
	global_load_dwordx2 v[22:23], v[2:3], off glc
	s_waitcnt vmcnt(0)
	global_atomic_cmpswap_x2 v[2:3], v26, v[22:25], s[6:7] offset:24 glc
	s_waitcnt vmcnt(0)
	buffer_wbinvl1_vol
	v_cmp_eq_u64_e32 vcc, v[2:3], v[24:25]
	s_or_b64 s[26:27], vcc, s[26:27]
	s_andn2_b64 exec, exec, s[26:27]
	s_cbranch_execnz .LBB4_213
; %bb.214:                              ;   in Loop: Header=BB4_155 Depth=1
	s_or_b64 exec, exec, s[26:27]
.LBB4_215:                              ;   in Loop: Header=BB4_155 Depth=1
	s_or_b64 exec, exec, s[24:25]
.LBB4_216:                              ;   in Loop: Header=BB4_155 Depth=1
	s_or_b64 exec, exec, s[22:23]
	global_load_dwordx2 v[27:28], v26, s[6:7] offset:40
	global_load_dwordx4 v[22:25], v26, s[6:7]
	v_readfirstlane_b32 s22, v2
	v_readfirstlane_b32 s23, v3
	s_mov_b64 s[24:25], exec
	s_waitcnt vmcnt(1)
	v_readfirstlane_b32 s26, v27
	v_readfirstlane_b32 s27, v28
	s_and_b64 s[26:27], s[22:23], s[26:27]
	s_mul_i32 s15, s27, 24
	s_mul_hi_u32 s28, s26, 24
	s_mul_i32 s29, s26, 24
	s_add_i32 s15, s28, s15
	v_mov_b32_e32 v2, s15
	s_waitcnt vmcnt(0)
	v_add_co_u32_e32 v27, vcc, s29, v22
	v_addc_co_u32_e32 v28, vcc, v23, v2, vcc
	s_and_saveexec_b64 s[28:29], s[4:5]
	s_cbranch_execz .LBB4_218
; %bb.217:                              ;   in Loop: Header=BB4_155 Depth=1
	v_mov_b32_e32 v2, s24
	v_mov_b32_e32 v3, s25
	global_store_dwordx4 v[27:28], v[2:5], off offset:8
.LBB4_218:                              ;   in Loop: Header=BB4_155 Depth=1
	s_or_b64 exec, exec, s[28:29]
	s_lshl_b64 s[24:25], s[26:27], 12
	v_mov_b32_e32 v2, s25
	v_add_co_u32_e32 v24, vcc, s24, v24
	v_addc_co_u32_e32 v29, vcc, v25, v2, vcc
	v_cmp_gt_u64_e64 vcc, s[18:19], 56
	v_or_b32_e32 v2, 2, v6
	s_lshl_b32 s15, s20, 2
	v_cndmask_b32_e32 v2, v2, v6, vcc
	s_add_i32 s15, s15, 28
	s_and_b32 s15, s15, 0x1e0
	v_and_b32_e32 v2, 0xffffff1f, v2
	v_or_b32_e32 v6, s15, v2
	v_readfirstlane_b32 s24, v24
	v_readfirstlane_b32 s25, v29
	s_nop 4
	global_store_dwordx4 v31, v[6:9], s[24:25]
	global_store_dwordx4 v31, v[10:13], s[24:25] offset:16
	global_store_dwordx4 v31, v[14:17], s[24:25] offset:32
	global_store_dwordx4 v31, v[18:21], s[24:25] offset:48
	s_and_saveexec_b64 s[24:25], s[4:5]
	s_cbranch_execz .LBB4_226
; %bb.219:                              ;   in Loop: Header=BB4_155 Depth=1
	global_load_dwordx2 v[10:11], v26, s[6:7] offset:32 glc
	global_load_dwordx2 v[2:3], v26, s[6:7] offset:40
	v_mov_b32_e32 v8, s22
	v_mov_b32_e32 v9, s23
	s_waitcnt vmcnt(0)
	v_readfirstlane_b32 s26, v2
	v_readfirstlane_b32 s27, v3
	s_and_b64 s[26:27], s[26:27], s[22:23]
	s_mul_i32 s15, s27, 24
	s_mul_hi_u32 s27, s26, 24
	s_mul_i32 s26, s26, 24
	s_add_i32 s15, s27, s15
	v_mov_b32_e32 v3, s15
	v_add_co_u32_e32 v2, vcc, s26, v22
	v_addc_co_u32_e32 v3, vcc, v23, v3, vcc
	global_store_dwordx2 v[2:3], v[10:11], off
	s_waitcnt vmcnt(0)
	global_atomic_cmpswap_x2 v[8:9], v26, v[8:11], s[6:7] offset:32 glc
	s_waitcnt vmcnt(0)
	v_cmp_ne_u64_e32 vcc, v[8:9], v[10:11]
	s_and_saveexec_b64 s[26:27], vcc
	s_cbranch_execz .LBB4_222
; %bb.220:                              ;   in Loop: Header=BB4_155 Depth=1
	s_mov_b64 s[28:29], 0
.LBB4_221:                              ;   Parent Loop BB4_155 Depth=1
                                        ; =>  This Inner Loop Header: Depth=2
	s_sleep 1
	global_store_dwordx2 v[2:3], v[8:9], off
	v_mov_b32_e32 v6, s22
	v_mov_b32_e32 v7, s23
	s_waitcnt vmcnt(0)
	global_atomic_cmpswap_x2 v[6:7], v26, v[6:9], s[6:7] offset:32 glc
	s_waitcnt vmcnt(0)
	v_cmp_eq_u64_e32 vcc, v[6:7], v[8:9]
	v_mov_b32_e32 v9, v7
	s_or_b64 s[28:29], vcc, s[28:29]
	v_mov_b32_e32 v8, v6
	s_andn2_b64 exec, exec, s[28:29]
	s_cbranch_execnz .LBB4_221
.LBB4_222:                              ;   in Loop: Header=BB4_155 Depth=1
	s_or_b64 exec, exec, s[26:27]
	global_load_dwordx2 v[2:3], v26, s[6:7] offset:16
	s_mov_b64 s[28:29], exec
	v_mbcnt_lo_u32_b32 v6, s28, 0
	v_mbcnt_hi_u32_b32 v6, s29, v6
	v_cmp_eq_u32_e32 vcc, 0, v6
	s_and_saveexec_b64 s[26:27], vcc
	s_cbranch_execz .LBB4_224
; %bb.223:                              ;   in Loop: Header=BB4_155 Depth=1
	s_bcnt1_i32_b64 s15, s[28:29]
	v_mov_b32_e32 v25, s15
	s_waitcnt vmcnt(0)
	global_atomic_add_x2 v[2:3], v[25:26], off offset:8
.LBB4_224:                              ;   in Loop: Header=BB4_155 Depth=1
	s_or_b64 exec, exec, s[26:27]
	s_waitcnt vmcnt(0)
	global_load_dwordx2 v[6:7], v[2:3], off offset:16
	s_waitcnt vmcnt(0)
	v_cmp_eq_u64_e32 vcc, 0, v[6:7]
	s_cbranch_vccnz .LBB4_226
; %bb.225:                              ;   in Loop: Header=BB4_155 Depth=1
	global_load_dword v25, v[2:3], off offset:24
	s_waitcnt vmcnt(0)
	v_and_b32_e32 v2, 0xffffff, v25
	v_readfirstlane_b32 m0, v2
	global_store_dwordx2 v[6:7], v[25:26], off
	s_sendmsg sendmsg(MSG_INTERRUPT)
.LBB4_226:                              ;   in Loop: Header=BB4_155 Depth=1
	s_or_b64 exec, exec, s[24:25]
	v_add_co_u32_e32 v2, vcc, v24, v31
	v_addc_co_u32_e32 v3, vcc, 0, v29, vcc
	s_branch .LBB4_230
.LBB4_227:                              ;   in Loop: Header=BB4_230 Depth=2
	s_or_b64 exec, exec, s[24:25]
	v_readfirstlane_b32 s15, v6
	s_cmp_eq_u32 s15, 0
	s_cbranch_scc1 .LBB4_229
; %bb.228:                              ;   in Loop: Header=BB4_230 Depth=2
	s_sleep 1
	s_cbranch_execnz .LBB4_230
	s_branch .LBB4_232
.LBB4_229:                              ;   in Loop: Header=BB4_155 Depth=1
	s_branch .LBB4_232
.LBB4_230:                              ;   Parent Loop BB4_155 Depth=1
                                        ; =>  This Inner Loop Header: Depth=2
	v_mov_b32_e32 v6, 1
	s_and_saveexec_b64 s[24:25], s[4:5]
	s_cbranch_execz .LBB4_227
; %bb.231:                              ;   in Loop: Header=BB4_230 Depth=2
	global_load_dword v6, v[27:28], off offset:20 glc
	s_waitcnt vmcnt(0)
	buffer_wbinvl1_vol
	v_and_b32_e32 v6, 1, v6
	s_branch .LBB4_227
.LBB4_232:                              ;   in Loop: Header=BB4_155 Depth=1
	global_load_dwordx4 v[6:9], v[2:3], off
	s_and_saveexec_b64 s[24:25], s[4:5]
	s_cbranch_execz .LBB4_154
; %bb.233:                              ;   in Loop: Header=BB4_155 Depth=1
	global_load_dwordx2 v[2:3], v26, s[6:7] offset:40
	global_load_dwordx2 v[12:13], v26, s[6:7] offset:24 glc
	global_load_dwordx2 v[14:15], v26, s[6:7]
	s_waitcnt vmcnt(3)
	v_mov_b32_e32 v9, s23
	s_waitcnt vmcnt(2)
	v_add_co_u32_e32 v10, vcc, 1, v2
	v_addc_co_u32_e32 v11, vcc, 0, v3, vcc
	v_add_co_u32_e32 v8, vcc, s22, v10
	v_addc_co_u32_e32 v9, vcc, v11, v9, vcc
	v_cmp_eq_u64_e32 vcc, 0, v[8:9]
	v_cndmask_b32_e32 v9, v9, v11, vcc
	v_cndmask_b32_e32 v8, v8, v10, vcc
	v_and_b32_e32 v3, v9, v3
	v_and_b32_e32 v2, v8, v2
	v_mul_lo_u32 v3, v3, 24
	v_mul_hi_u32 v11, v2, 24
	v_mul_lo_u32 v2, v2, 24
	s_waitcnt vmcnt(1)
	v_mov_b32_e32 v10, v12
	v_add_u32_e32 v3, v11, v3
	s_waitcnt vmcnt(0)
	v_add_co_u32_e32 v2, vcc, v14, v2
	v_addc_co_u32_e32 v3, vcc, v15, v3, vcc
	global_store_dwordx2 v[2:3], v[12:13], off
	v_mov_b32_e32 v11, v13
	s_waitcnt vmcnt(0)
	global_atomic_cmpswap_x2 v[10:11], v26, v[8:11], s[6:7] offset:24 glc
	s_waitcnt vmcnt(0)
	v_cmp_ne_u64_e32 vcc, v[10:11], v[12:13]
	s_and_b64 exec, exec, vcc
	s_cbranch_execz .LBB4_154
; %bb.234:                              ;   in Loop: Header=BB4_155 Depth=1
	s_mov_b64 s[4:5], 0
.LBB4_235:                              ;   Parent Loop BB4_155 Depth=1
                                        ; =>  This Inner Loop Header: Depth=2
	s_sleep 1
	global_store_dwordx2 v[2:3], v[10:11], off
	s_waitcnt vmcnt(0)
	global_atomic_cmpswap_x2 v[12:13], v26, v[8:11], s[6:7] offset:24 glc
	s_waitcnt vmcnt(0)
	v_cmp_eq_u64_e32 vcc, v[12:13], v[10:11]
	v_mov_b32_e32 v10, v12
	s_or_b64 s[4:5], vcc, s[4:5]
	v_mov_b32_e32 v11, v13
	s_andn2_b64 exec, exec, s[4:5]
	s_cbranch_execnz .LBB4_235
	s_branch .LBB4_154
.LBB4_236:
	s_branch .LBB4_264
.LBB4_237:
	s_cbranch_execz .LBB4_264
; %bb.238:
	v_readfirstlane_b32 s4, v32
	s_waitcnt vmcnt(0)
	v_mov_b32_e32 v8, 0
	v_mov_b32_e32 v9, 0
	v_cmp_eq_u32_e64 s[4:5], s4, v32
	s_and_saveexec_b64 s[16:17], s[4:5]
	s_cbranch_execz .LBB4_244
; %bb.239:
	v_mov_b32_e32 v2, 0
	global_load_dwordx2 v[5:6], v2, s[6:7] offset:24 glc
	s_waitcnt vmcnt(0)
	buffer_wbinvl1_vol
	global_load_dwordx2 v[3:4], v2, s[6:7] offset:40
	global_load_dwordx2 v[7:8], v2, s[6:7]
	s_waitcnt vmcnt(1)
	v_and_b32_e32 v3, v3, v5
	v_and_b32_e32 v4, v4, v6
	v_mul_lo_u32 v4, v4, 24
	v_mul_hi_u32 v9, v3, 24
	v_mul_lo_u32 v3, v3, 24
	v_add_u32_e32 v4, v9, v4
	s_waitcnt vmcnt(0)
	v_add_co_u32_e32 v3, vcc, v7, v3
	v_addc_co_u32_e32 v4, vcc, v8, v4, vcc
	global_load_dwordx2 v[3:4], v[3:4], off glc
	s_waitcnt vmcnt(0)
	global_atomic_cmpswap_x2 v[8:9], v2, v[3:6], s[6:7] offset:24 glc
	s_waitcnt vmcnt(0)
	buffer_wbinvl1_vol
	v_cmp_ne_u64_e32 vcc, v[8:9], v[5:6]
	s_and_saveexec_b64 s[18:19], vcc
	s_cbranch_execz .LBB4_243
; %bb.240:
	s_mov_b64 s[20:21], 0
.LBB4_241:                              ; =>This Inner Loop Header: Depth=1
	s_sleep 1
	global_load_dwordx2 v[3:4], v2, s[6:7] offset:40
	global_load_dwordx2 v[10:11], v2, s[6:7]
	v_mov_b32_e32 v5, v8
	v_mov_b32_e32 v6, v9
	s_waitcnt vmcnt(1)
	v_and_b32_e32 v3, v3, v5
	s_waitcnt vmcnt(0)
	v_mad_u64_u32 v[7:8], s[22:23], v3, 24, v[10:11]
	v_and_b32_e32 v4, v4, v6
	v_mov_b32_e32 v3, v8
	v_mad_u64_u32 v[3:4], s[22:23], v4, 24, v[3:4]
	v_mov_b32_e32 v8, v3
	global_load_dwordx2 v[3:4], v[7:8], off glc
	s_waitcnt vmcnt(0)
	global_atomic_cmpswap_x2 v[8:9], v2, v[3:6], s[6:7] offset:24 glc
	s_waitcnt vmcnt(0)
	buffer_wbinvl1_vol
	v_cmp_eq_u64_e32 vcc, v[8:9], v[5:6]
	s_or_b64 s[20:21], vcc, s[20:21]
	s_andn2_b64 exec, exec, s[20:21]
	s_cbranch_execnz .LBB4_241
; %bb.242:
	s_or_b64 exec, exec, s[20:21]
.LBB4_243:
	s_or_b64 exec, exec, s[18:19]
.LBB4_244:
	s_or_b64 exec, exec, s[16:17]
	v_mov_b32_e32 v2, 0
	global_load_dwordx2 v[10:11], v2, s[6:7] offset:40
	global_load_dwordx4 v[4:7], v2, s[6:7]
	v_readfirstlane_b32 s16, v8
	v_readfirstlane_b32 s17, v9
	s_mov_b64 s[18:19], exec
	s_waitcnt vmcnt(1)
	v_readfirstlane_b32 s20, v10
	v_readfirstlane_b32 s21, v11
	s_and_b64 s[20:21], s[16:17], s[20:21]
	s_mul_i32 s15, s21, 24
	s_mul_hi_u32 s22, s20, 24
	s_mul_i32 s23, s20, 24
	s_add_i32 s15, s22, s15
	v_mov_b32_e32 v3, s15
	s_waitcnt vmcnt(0)
	v_add_co_u32_e32 v8, vcc, s23, v4
	v_addc_co_u32_e32 v9, vcc, v5, v3, vcc
	s_and_saveexec_b64 s[22:23], s[4:5]
	s_cbranch_execz .LBB4_246
; %bb.245:
	v_mov_b32_e32 v10, s18
	v_mov_b32_e32 v11, s19
	;; [unrolled: 1-line block ×4, first 2 shown]
	global_store_dwordx4 v[8:9], v[10:13], off offset:8
.LBB4_246:
	s_or_b64 exec, exec, s[22:23]
	s_lshl_b64 s[18:19], s[20:21], 12
	v_mov_b32_e32 v3, s19
	v_add_co_u32_e32 v6, vcc, s18, v6
	v_addc_co_u32_e32 v7, vcc, v7, v3, vcc
	s_movk_i32 s15, 0xff1d
	v_and_or_b32 v0, v0, s15, 34
	s_mov_b32 s20, 0
	v_mov_b32_e32 v3, v2
	v_readfirstlane_b32 s18, v6
	v_readfirstlane_b32 s19, v7
	s_mov_b32 s21, s20
	s_mov_b32 s22, s20
	;; [unrolled: 1-line block ×3, first 2 shown]
	s_nop 1
	global_store_dwordx4 v31, v[0:3], s[18:19]
	s_nop 0
	v_mov_b32_e32 v0, s20
	v_mov_b32_e32 v1, s21
	;; [unrolled: 1-line block ×4, first 2 shown]
	global_store_dwordx4 v31, v[0:3], s[18:19] offset:16
	global_store_dwordx4 v31, v[0:3], s[18:19] offset:32
	;; [unrolled: 1-line block ×3, first 2 shown]
	s_and_saveexec_b64 s[18:19], s[4:5]
	s_cbranch_execz .LBB4_254
; %bb.247:
	v_mov_b32_e32 v6, 0
	global_load_dwordx2 v[12:13], v6, s[6:7] offset:32 glc
	global_load_dwordx2 v[0:1], v6, s[6:7] offset:40
	v_mov_b32_e32 v10, s16
	v_mov_b32_e32 v11, s17
	s_waitcnt vmcnt(0)
	v_readfirstlane_b32 s20, v0
	v_readfirstlane_b32 s21, v1
	s_and_b64 s[20:21], s[20:21], s[16:17]
	s_mul_i32 s15, s21, 24
	s_mul_hi_u32 s21, s20, 24
	s_mul_i32 s20, s20, 24
	s_add_i32 s15, s21, s15
	v_mov_b32_e32 v0, s15
	v_add_co_u32_e32 v4, vcc, s20, v4
	v_addc_co_u32_e32 v5, vcc, v5, v0, vcc
	global_store_dwordx2 v[4:5], v[12:13], off
	s_waitcnt vmcnt(0)
	global_atomic_cmpswap_x2 v[2:3], v6, v[10:13], s[6:7] offset:32 glc
	s_waitcnt vmcnt(0)
	v_cmp_ne_u64_e32 vcc, v[2:3], v[12:13]
	s_and_saveexec_b64 s[20:21], vcc
	s_cbranch_execz .LBB4_250
; %bb.248:
	s_mov_b64 s[22:23], 0
.LBB4_249:                              ; =>This Inner Loop Header: Depth=1
	s_sleep 1
	global_store_dwordx2 v[4:5], v[2:3], off
	v_mov_b32_e32 v0, s16
	v_mov_b32_e32 v1, s17
	s_waitcnt vmcnt(0)
	global_atomic_cmpswap_x2 v[0:1], v6, v[0:3], s[6:7] offset:32 glc
	s_waitcnt vmcnt(0)
	v_cmp_eq_u64_e32 vcc, v[0:1], v[2:3]
	v_mov_b32_e32 v3, v1
	s_or_b64 s[22:23], vcc, s[22:23]
	v_mov_b32_e32 v2, v0
	s_andn2_b64 exec, exec, s[22:23]
	s_cbranch_execnz .LBB4_249
.LBB4_250:
	s_or_b64 exec, exec, s[20:21]
	v_mov_b32_e32 v3, 0
	global_load_dwordx2 v[0:1], v3, s[6:7] offset:16
	s_mov_b64 s[20:21], exec
	v_mbcnt_lo_u32_b32 v2, s20, 0
	v_mbcnt_hi_u32_b32 v2, s21, v2
	v_cmp_eq_u32_e32 vcc, 0, v2
	s_and_saveexec_b64 s[22:23], vcc
	s_cbranch_execz .LBB4_252
; %bb.251:
	s_bcnt1_i32_b64 s15, s[20:21]
	v_mov_b32_e32 v2, s15
	s_waitcnt vmcnt(0)
	global_atomic_add_x2 v[0:1], v[2:3], off offset:8
.LBB4_252:
	s_or_b64 exec, exec, s[22:23]
	s_waitcnt vmcnt(0)
	global_load_dwordx2 v[2:3], v[0:1], off offset:16
	s_waitcnt vmcnt(0)
	v_cmp_eq_u64_e32 vcc, 0, v[2:3]
	s_cbranch_vccnz .LBB4_254
; %bb.253:
	global_load_dword v0, v[0:1], off offset:24
	v_mov_b32_e32 v1, 0
	s_waitcnt vmcnt(0)
	global_store_dwordx2 v[2:3], v[0:1], off
	v_and_b32_e32 v0, 0xffffff, v0
	v_readfirstlane_b32 m0, v0
	s_sendmsg sendmsg(MSG_INTERRUPT)
.LBB4_254:
	s_or_b64 exec, exec, s[18:19]
	s_branch .LBB4_258
.LBB4_255:                              ;   in Loop: Header=BB4_258 Depth=1
	s_or_b64 exec, exec, s[18:19]
	v_readfirstlane_b32 s15, v0
	s_cmp_eq_u32 s15, 0
	s_cbranch_scc1 .LBB4_257
; %bb.256:                              ;   in Loop: Header=BB4_258 Depth=1
	s_sleep 1
	s_cbranch_execnz .LBB4_258
	s_branch .LBB4_260
.LBB4_257:
	s_branch .LBB4_260
.LBB4_258:                              ; =>This Inner Loop Header: Depth=1
	v_mov_b32_e32 v0, 1
	s_and_saveexec_b64 s[18:19], s[4:5]
	s_cbranch_execz .LBB4_255
; %bb.259:                              ;   in Loop: Header=BB4_258 Depth=1
	global_load_dword v0, v[8:9], off offset:20 glc
	s_waitcnt vmcnt(0)
	buffer_wbinvl1_vol
	v_and_b32_e32 v0, 1, v0
	s_branch .LBB4_255
.LBB4_260:
	s_and_saveexec_b64 s[18:19], s[4:5]
	s_cbranch_execz .LBB4_263
; %bb.261:
	v_mov_b32_e32 v6, 0
	global_load_dwordx2 v[2:3], v6, s[6:7] offset:40
	global_load_dwordx2 v[7:8], v6, s[6:7] offset:24 glc
	global_load_dwordx2 v[4:5], v6, s[6:7]
	v_mov_b32_e32 v1, s17
	s_mov_b64 s[4:5], 0
	s_waitcnt vmcnt(2)
	v_add_co_u32_e32 v9, vcc, 1, v2
	v_addc_co_u32_e32 v10, vcc, 0, v3, vcc
	v_add_co_u32_e32 v0, vcc, s16, v9
	v_addc_co_u32_e32 v1, vcc, v10, v1, vcc
	v_cmp_eq_u64_e32 vcc, 0, v[0:1]
	v_cndmask_b32_e32 v1, v1, v10, vcc
	v_cndmask_b32_e32 v0, v0, v9, vcc
	v_and_b32_e32 v3, v1, v3
	v_and_b32_e32 v2, v0, v2
	v_mul_lo_u32 v3, v3, 24
	v_mul_hi_u32 v9, v2, 24
	v_mul_lo_u32 v10, v2, 24
	s_waitcnt vmcnt(1)
	v_mov_b32_e32 v2, v7
	v_add_u32_e32 v3, v9, v3
	s_waitcnt vmcnt(0)
	v_add_co_u32_e32 v4, vcc, v4, v10
	v_addc_co_u32_e32 v5, vcc, v5, v3, vcc
	global_store_dwordx2 v[4:5], v[7:8], off
	v_mov_b32_e32 v3, v8
	s_waitcnt vmcnt(0)
	global_atomic_cmpswap_x2 v[2:3], v6, v[0:3], s[6:7] offset:24 glc
	s_waitcnt vmcnt(0)
	v_cmp_ne_u64_e32 vcc, v[2:3], v[7:8]
	s_and_b64 exec, exec, vcc
	s_cbranch_execz .LBB4_263
.LBB4_262:                              ; =>This Inner Loop Header: Depth=1
	s_sleep 1
	global_store_dwordx2 v[4:5], v[2:3], off
	s_waitcnt vmcnt(0)
	global_atomic_cmpswap_x2 v[7:8], v6, v[0:3], s[6:7] offset:24 glc
	s_waitcnt vmcnt(0)
	v_cmp_eq_u64_e32 vcc, v[7:8], v[2:3]
	v_mov_b32_e32 v2, v7
	s_or_b64 s[4:5], vcc, s[4:5]
	v_mov_b32_e32 v3, v8
	s_andn2_b64 exec, exec, s[4:5]
	s_cbranch_execnz .LBB4_262
.LBB4_263:
	s_or_b64 exec, exec, s[18:19]
.LBB4_264:
	v_readfirstlane_b32 s4, v32
	s_waitcnt vmcnt(0)
	v_mov_b32_e32 v5, 0
	v_mov_b32_e32 v6, 0
	v_cmp_eq_u32_e64 s[4:5], s4, v32
	s_and_saveexec_b64 s[16:17], s[4:5]
	s_cbranch_execz .LBB4_270
; %bb.265:
	v_mov_b32_e32 v0, 0
	global_load_dwordx2 v[3:4], v0, s[6:7] offset:24 glc
	s_waitcnt vmcnt(0)
	buffer_wbinvl1_vol
	global_load_dwordx2 v[1:2], v0, s[6:7] offset:40
	global_load_dwordx2 v[5:6], v0, s[6:7]
	s_waitcnt vmcnt(1)
	v_and_b32_e32 v1, v1, v3
	v_and_b32_e32 v2, v2, v4
	v_mul_lo_u32 v2, v2, 24
	v_mul_hi_u32 v7, v1, 24
	v_mul_lo_u32 v1, v1, 24
	v_add_u32_e32 v2, v7, v2
	s_waitcnt vmcnt(0)
	v_add_co_u32_e32 v1, vcc, v5, v1
	v_addc_co_u32_e32 v2, vcc, v6, v2, vcc
	global_load_dwordx2 v[1:2], v[1:2], off glc
	s_waitcnt vmcnt(0)
	global_atomic_cmpswap_x2 v[5:6], v0, v[1:4], s[6:7] offset:24 glc
	s_waitcnt vmcnt(0)
	buffer_wbinvl1_vol
	v_cmp_ne_u64_e32 vcc, v[5:6], v[3:4]
	s_and_saveexec_b64 s[18:19], vcc
	s_cbranch_execz .LBB4_269
; %bb.266:
	s_mov_b64 s[20:21], 0
.LBB4_267:                              ; =>This Inner Loop Header: Depth=1
	s_sleep 1
	global_load_dwordx2 v[1:2], v0, s[6:7] offset:40
	global_load_dwordx2 v[7:8], v0, s[6:7]
	v_mov_b32_e32 v3, v5
	v_mov_b32_e32 v4, v6
	s_waitcnt vmcnt(1)
	v_and_b32_e32 v1, v1, v3
	s_waitcnt vmcnt(0)
	v_mad_u64_u32 v[5:6], s[22:23], v1, 24, v[7:8]
	v_and_b32_e32 v2, v2, v4
	v_mov_b32_e32 v1, v6
	v_mad_u64_u32 v[1:2], s[22:23], v2, 24, v[1:2]
	v_mov_b32_e32 v6, v1
	global_load_dwordx2 v[1:2], v[5:6], off glc
	s_waitcnt vmcnt(0)
	global_atomic_cmpswap_x2 v[5:6], v0, v[1:4], s[6:7] offset:24 glc
	s_waitcnt vmcnt(0)
	buffer_wbinvl1_vol
	v_cmp_eq_u64_e32 vcc, v[5:6], v[3:4]
	s_or_b64 s[20:21], vcc, s[20:21]
	s_andn2_b64 exec, exec, s[20:21]
	s_cbranch_execnz .LBB4_267
; %bb.268:
	s_or_b64 exec, exec, s[20:21]
.LBB4_269:
	s_or_b64 exec, exec, s[18:19]
.LBB4_270:
	s_or_b64 exec, exec, s[16:17]
	v_mov_b32_e32 v4, 0
	global_load_dwordx2 v[7:8], v4, s[6:7] offset:40
	global_load_dwordx4 v[0:3], v4, s[6:7]
	v_readfirstlane_b32 s16, v5
	v_readfirstlane_b32 s17, v6
	s_mov_b64 s[18:19], exec
	s_waitcnt vmcnt(1)
	v_readfirstlane_b32 s20, v7
	v_readfirstlane_b32 s21, v8
	s_and_b64 s[20:21], s[16:17], s[20:21]
	s_mul_i32 s15, s21, 24
	s_mul_hi_u32 s22, s20, 24
	s_mul_i32 s23, s20, 24
	s_add_i32 s15, s22, s15
	v_mov_b32_e32 v5, s15
	s_waitcnt vmcnt(0)
	v_add_co_u32_e32 v7, vcc, s23, v0
	v_addc_co_u32_e32 v8, vcc, v1, v5, vcc
	s_and_saveexec_b64 s[22:23], s[4:5]
	s_cbranch_execz .LBB4_272
; %bb.271:
	v_mov_b32_e32 v9, s18
	v_mov_b32_e32 v10, s19
	;; [unrolled: 1-line block ×4, first 2 shown]
	global_store_dwordx4 v[7:8], v[9:12], off offset:8
.LBB4_272:
	s_or_b64 exec, exec, s[22:23]
	s_lshl_b64 s[18:19], s[20:21], 12
	v_mov_b32_e32 v5, s19
	v_add_co_u32_e32 v2, vcc, s18, v2
	v_addc_co_u32_e32 v11, vcc, v3, v5, vcc
	s_mov_b32 s20, 0
	v_mov_b32_e32 v3, 33
	v_mov_b32_e32 v5, v4
	v_mov_b32_e32 v6, v4
	v_readfirstlane_b32 s18, v2
	v_readfirstlane_b32 s19, v11
	v_add_co_u32_e32 v9, vcc, v2, v31
	s_mov_b32 s21, s20
	s_mov_b32 s22, s20
	;; [unrolled: 1-line block ×3, first 2 shown]
	s_nop 0
	global_store_dwordx4 v31, v[3:6], s[18:19]
	v_mov_b32_e32 v2, s20
	v_addc_co_u32_e32 v10, vcc, 0, v11, vcc
	v_mov_b32_e32 v3, s21
	v_mov_b32_e32 v4, s22
	;; [unrolled: 1-line block ×3, first 2 shown]
	global_store_dwordx4 v31, v[2:5], s[18:19] offset:16
	global_store_dwordx4 v31, v[2:5], s[18:19] offset:32
	;; [unrolled: 1-line block ×3, first 2 shown]
	s_and_saveexec_b64 s[18:19], s[4:5]
	s_cbranch_execz .LBB4_280
; %bb.273:
	v_mov_b32_e32 v6, 0
	global_load_dwordx2 v[13:14], v6, s[6:7] offset:32 glc
	global_load_dwordx2 v[2:3], v6, s[6:7] offset:40
	v_mov_b32_e32 v11, s16
	v_mov_b32_e32 v12, s17
	s_waitcnt vmcnt(0)
	v_readfirstlane_b32 s20, v2
	v_readfirstlane_b32 s21, v3
	s_and_b64 s[20:21], s[20:21], s[16:17]
	s_mul_i32 s15, s21, 24
	s_mul_hi_u32 s21, s20, 24
	s_mul_i32 s20, s20, 24
	s_add_i32 s15, s21, s15
	v_mov_b32_e32 v2, s15
	v_add_co_u32_e32 v4, vcc, s20, v0
	v_addc_co_u32_e32 v5, vcc, v1, v2, vcc
	global_store_dwordx2 v[4:5], v[13:14], off
	s_waitcnt vmcnt(0)
	global_atomic_cmpswap_x2 v[2:3], v6, v[11:14], s[6:7] offset:32 glc
	s_waitcnt vmcnt(0)
	v_cmp_ne_u64_e32 vcc, v[2:3], v[13:14]
	s_and_saveexec_b64 s[20:21], vcc
	s_cbranch_execz .LBB4_276
; %bb.274:
	s_mov_b64 s[22:23], 0
.LBB4_275:                              ; =>This Inner Loop Header: Depth=1
	s_sleep 1
	global_store_dwordx2 v[4:5], v[2:3], off
	v_mov_b32_e32 v0, s16
	v_mov_b32_e32 v1, s17
	s_waitcnt vmcnt(0)
	global_atomic_cmpswap_x2 v[0:1], v6, v[0:3], s[6:7] offset:32 glc
	s_waitcnt vmcnt(0)
	v_cmp_eq_u64_e32 vcc, v[0:1], v[2:3]
	v_mov_b32_e32 v3, v1
	s_or_b64 s[22:23], vcc, s[22:23]
	v_mov_b32_e32 v2, v0
	s_andn2_b64 exec, exec, s[22:23]
	s_cbranch_execnz .LBB4_275
.LBB4_276:
	s_or_b64 exec, exec, s[20:21]
	v_mov_b32_e32 v3, 0
	global_load_dwordx2 v[0:1], v3, s[6:7] offset:16
	s_mov_b64 s[20:21], exec
	v_mbcnt_lo_u32_b32 v2, s20, 0
	v_mbcnt_hi_u32_b32 v2, s21, v2
	v_cmp_eq_u32_e32 vcc, 0, v2
	s_and_saveexec_b64 s[22:23], vcc
	s_cbranch_execz .LBB4_278
; %bb.277:
	s_bcnt1_i32_b64 s15, s[20:21]
	v_mov_b32_e32 v2, s15
	s_waitcnt vmcnt(0)
	global_atomic_add_x2 v[0:1], v[2:3], off offset:8
.LBB4_278:
	s_or_b64 exec, exec, s[22:23]
	s_waitcnt vmcnt(0)
	global_load_dwordx2 v[2:3], v[0:1], off offset:16
	s_waitcnt vmcnt(0)
	v_cmp_eq_u64_e32 vcc, 0, v[2:3]
	s_cbranch_vccnz .LBB4_280
; %bb.279:
	global_load_dword v0, v[0:1], off offset:24
	v_mov_b32_e32 v1, 0
	s_waitcnt vmcnt(0)
	global_store_dwordx2 v[2:3], v[0:1], off
	v_and_b32_e32 v0, 0xffffff, v0
	v_readfirstlane_b32 m0, v0
	s_sendmsg sendmsg(MSG_INTERRUPT)
.LBB4_280:
	s_or_b64 exec, exec, s[18:19]
	s_branch .LBB4_284
.LBB4_281:                              ;   in Loop: Header=BB4_284 Depth=1
	s_or_b64 exec, exec, s[18:19]
	v_readfirstlane_b32 s15, v0
	s_cmp_eq_u32 s15, 0
	s_cbranch_scc1 .LBB4_283
; %bb.282:                              ;   in Loop: Header=BB4_284 Depth=1
	s_sleep 1
	s_cbranch_execnz .LBB4_284
	s_branch .LBB4_286
.LBB4_283:
	s_branch .LBB4_286
.LBB4_284:                              ; =>This Inner Loop Header: Depth=1
	v_mov_b32_e32 v0, 1
	s_and_saveexec_b64 s[18:19], s[4:5]
	s_cbranch_execz .LBB4_281
; %bb.285:                              ;   in Loop: Header=BB4_284 Depth=1
	global_load_dword v0, v[7:8], off offset:20 glc
	s_waitcnt vmcnt(0)
	buffer_wbinvl1_vol
	v_and_b32_e32 v0, 1, v0
	s_branch .LBB4_281
.LBB4_286:
	global_load_dwordx2 v[0:1], v[9:10], off
	s_and_saveexec_b64 s[18:19], s[4:5]
	s_cbranch_execz .LBB4_289
; %bb.287:
	v_mov_b32_e32 v8, 0
	global_load_dwordx2 v[4:5], v8, s[6:7] offset:40
	global_load_dwordx2 v[9:10], v8, s[6:7] offset:24 glc
	global_load_dwordx2 v[6:7], v8, s[6:7]
	v_mov_b32_e32 v3, s17
	s_mov_b64 s[4:5], 0
	s_waitcnt vmcnt(2)
	v_add_co_u32_e32 v11, vcc, 1, v4
	v_addc_co_u32_e32 v12, vcc, 0, v5, vcc
	v_add_co_u32_e32 v2, vcc, s16, v11
	v_addc_co_u32_e32 v3, vcc, v12, v3, vcc
	v_cmp_eq_u64_e32 vcc, 0, v[2:3]
	v_cndmask_b32_e32 v3, v3, v12, vcc
	v_cndmask_b32_e32 v2, v2, v11, vcc
	v_and_b32_e32 v5, v3, v5
	v_and_b32_e32 v4, v2, v4
	v_mul_lo_u32 v5, v5, 24
	v_mul_hi_u32 v11, v4, 24
	v_mul_lo_u32 v12, v4, 24
	s_waitcnt vmcnt(1)
	v_mov_b32_e32 v4, v9
	v_add_u32_e32 v5, v11, v5
	s_waitcnt vmcnt(0)
	v_add_co_u32_e32 v6, vcc, v6, v12
	v_addc_co_u32_e32 v7, vcc, v7, v5, vcc
	global_store_dwordx2 v[6:7], v[9:10], off
	v_mov_b32_e32 v5, v10
	s_waitcnt vmcnt(0)
	global_atomic_cmpswap_x2 v[4:5], v8, v[2:5], s[6:7] offset:24 glc
	s_waitcnt vmcnt(0)
	v_cmp_ne_u64_e32 vcc, v[4:5], v[9:10]
	s_and_b64 exec, exec, vcc
	s_cbranch_execz .LBB4_289
.LBB4_288:                              ; =>This Inner Loop Header: Depth=1
	s_sleep 1
	global_store_dwordx2 v[6:7], v[4:5], off
	s_waitcnt vmcnt(0)
	global_atomic_cmpswap_x2 v[9:10], v8, v[2:5], s[6:7] offset:24 glc
	s_waitcnt vmcnt(0)
	v_cmp_eq_u64_e32 vcc, v[9:10], v[4:5]
	v_mov_b32_e32 v4, v9
	s_or_b64 s[4:5], vcc, s[4:5]
	v_mov_b32_e32 v5, v10
	s_andn2_b64 exec, exec, s[4:5]
	s_cbranch_execnz .LBB4_288
.LBB4_289:
	s_or_b64 exec, exec, s[18:19]
	s_getpc_b64 s[18:19]
	s_add_u32 s18, s18, .str.6@rel32@lo+4
	s_addc_u32 s19, s19, .str.6@rel32@hi+12
	s_cmp_lg_u64 s[18:19], 0
	s_cselect_b64 s[16:17], -1, 0
	s_and_b64 vcc, exec, s[16:17]
	s_cbranch_vccz .LBB4_374
; %bb.290:
	s_waitcnt vmcnt(0)
	v_and_b32_e32 v33, 2, v0
	v_mov_b32_e32 v28, 0
	v_and_b32_e32 v2, -3, v0
	v_mov_b32_e32 v3, v1
	s_mov_b64 s[20:21], 3
	v_mov_b32_e32 v6, 2
	v_mov_b32_e32 v7, 1
	s_branch .LBB4_292
.LBB4_291:                              ;   in Loop: Header=BB4_292 Depth=1
	s_or_b64 exec, exec, s[26:27]
	s_sub_u32 s20, s20, s22
	s_subb_u32 s21, s21, s23
	s_add_u32 s18, s18, s22
	s_addc_u32 s19, s19, s23
	s_cmp_lg_u64 s[20:21], 0
	s_cbranch_scc0 .LBB4_373
.LBB4_292:                              ; =>This Loop Header: Depth=1
                                        ;     Child Loop BB4_295 Depth 2
                                        ;     Child Loop BB4_302 Depth 2
	;; [unrolled: 1-line block ×11, first 2 shown]
	v_cmp_lt_u64_e64 s[4:5], s[20:21], 56
	v_cmp_gt_u64_e64 s[24:25], s[20:21], 7
	s_and_b64 s[4:5], s[4:5], exec
	s_cselect_b32 s23, s21, 0
	s_cselect_b32 s22, s20, 56
	s_and_b64 vcc, exec, s[24:25]
	s_cbranch_vccnz .LBB4_297
; %bb.293:                              ;   in Loop: Header=BB4_292 Depth=1
	v_mov_b32_e32 v10, 0
	s_cmp_eq_u64 s[20:21], 0
	v_mov_b32_e32 v11, 0
	s_mov_b64 s[4:5], 0
	s_cbranch_scc1 .LBB4_296
; %bb.294:                              ;   in Loop: Header=BB4_292 Depth=1
	v_mov_b32_e32 v10, 0
	s_lshl_b64 s[24:25], s[22:23], 3
	s_mov_b64 s[26:27], 0
	v_mov_b32_e32 v11, 0
	s_mov_b64 s[28:29], s[18:19]
.LBB4_295:                              ;   Parent Loop BB4_292 Depth=1
                                        ; =>  This Inner Loop Header: Depth=2
	global_load_ubyte v4, v28, s[28:29]
	s_waitcnt vmcnt(0)
	v_and_b32_e32 v27, 0xffff, v4
	v_lshlrev_b64 v[4:5], s26, v[27:28]
	s_add_u32 s26, s26, 8
	s_addc_u32 s27, s27, 0
	s_add_u32 s28, s28, 1
	s_addc_u32 s29, s29, 0
	v_or_b32_e32 v10, v4, v10
	s_cmp_lg_u32 s24, s26
	v_or_b32_e32 v11, v5, v11
	s_cbranch_scc1 .LBB4_295
.LBB4_296:                              ;   in Loop: Header=BB4_292 Depth=1
	s_mov_b32 s15, 0
	s_andn2_b64 vcc, exec, s[4:5]
	s_mov_b64 s[4:5], s[18:19]
	s_cbranch_vccz .LBB4_298
	s_branch .LBB4_299
.LBB4_297:                              ;   in Loop: Header=BB4_292 Depth=1
                                        ; implicit-def: $vgpr10_vgpr11
                                        ; implicit-def: $sgpr15
	s_mov_b64 s[4:5], s[18:19]
.LBB4_298:                              ;   in Loop: Header=BB4_292 Depth=1
	global_load_dwordx2 v[10:11], v28, s[18:19]
	s_add_i32 s15, s22, -8
	s_add_u32 s4, s18, 8
	s_addc_u32 s5, s19, 0
.LBB4_299:                              ;   in Loop: Header=BB4_292 Depth=1
	s_cmp_gt_u32 s15, 7
	s_cbranch_scc1 .LBB4_303
; %bb.300:                              ;   in Loop: Header=BB4_292 Depth=1
	s_cmp_eq_u32 s15, 0
	s_cbranch_scc1 .LBB4_304
; %bb.301:                              ;   in Loop: Header=BB4_292 Depth=1
	v_mov_b32_e32 v12, 0
	s_mov_b64 s[24:25], 0
	v_mov_b32_e32 v13, 0
	s_mov_b64 s[26:27], 0
.LBB4_302:                              ;   Parent Loop BB4_292 Depth=1
                                        ; =>  This Inner Loop Header: Depth=2
	s_add_u32 s28, s4, s26
	s_addc_u32 s29, s5, s27
	global_load_ubyte v4, v28, s[28:29]
	s_add_u32 s26, s26, 1
	s_addc_u32 s27, s27, 0
	s_waitcnt vmcnt(0)
	v_and_b32_e32 v27, 0xffff, v4
	v_lshlrev_b64 v[4:5], s24, v[27:28]
	s_add_u32 s24, s24, 8
	s_addc_u32 s25, s25, 0
	v_or_b32_e32 v12, v4, v12
	s_cmp_lg_u32 s15, s26
	v_or_b32_e32 v13, v5, v13
	s_cbranch_scc1 .LBB4_302
	s_branch .LBB4_305
.LBB4_303:                              ;   in Loop: Header=BB4_292 Depth=1
                                        ; implicit-def: $vgpr12_vgpr13
                                        ; implicit-def: $sgpr28
	s_branch .LBB4_306
.LBB4_304:                              ;   in Loop: Header=BB4_292 Depth=1
	v_mov_b32_e32 v12, 0
	v_mov_b32_e32 v13, 0
.LBB4_305:                              ;   in Loop: Header=BB4_292 Depth=1
	s_mov_b32 s28, 0
	s_cbranch_execnz .LBB4_307
.LBB4_306:                              ;   in Loop: Header=BB4_292 Depth=1
	global_load_dwordx2 v[12:13], v28, s[4:5]
	s_add_i32 s28, s15, -8
	s_add_u32 s4, s4, 8
	s_addc_u32 s5, s5, 0
.LBB4_307:                              ;   in Loop: Header=BB4_292 Depth=1
	s_cmp_gt_u32 s28, 7
	s_cbranch_scc1 .LBB4_311
; %bb.308:                              ;   in Loop: Header=BB4_292 Depth=1
	s_cmp_eq_u32 s28, 0
	s_cbranch_scc1 .LBB4_312
; %bb.309:                              ;   in Loop: Header=BB4_292 Depth=1
	v_mov_b32_e32 v14, 0
	s_mov_b64 s[24:25], 0
	v_mov_b32_e32 v15, 0
	s_mov_b64 s[26:27], 0
.LBB4_310:                              ;   Parent Loop BB4_292 Depth=1
                                        ; =>  This Inner Loop Header: Depth=2
	s_add_u32 vcc_lo, s4, s26
	s_addc_u32 vcc_hi, s5, s27
	global_load_ubyte v4, v28, vcc
	s_add_u32 s26, s26, 1
	s_addc_u32 s27, s27, 0
	s_waitcnt vmcnt(0)
	v_and_b32_e32 v27, 0xffff, v4
	v_lshlrev_b64 v[4:5], s24, v[27:28]
	s_add_u32 s24, s24, 8
	s_addc_u32 s25, s25, 0
	v_or_b32_e32 v14, v4, v14
	s_cmp_lg_u32 s28, s26
	v_or_b32_e32 v15, v5, v15
	s_cbranch_scc1 .LBB4_310
	s_branch .LBB4_313
.LBB4_311:                              ;   in Loop: Header=BB4_292 Depth=1
                                        ; implicit-def: $sgpr15
	s_branch .LBB4_314
.LBB4_312:                              ;   in Loop: Header=BB4_292 Depth=1
	v_mov_b32_e32 v14, 0
	v_mov_b32_e32 v15, 0
.LBB4_313:                              ;   in Loop: Header=BB4_292 Depth=1
	s_mov_b32 s15, 0
	s_cbranch_execnz .LBB4_315
.LBB4_314:                              ;   in Loop: Header=BB4_292 Depth=1
	global_load_dwordx2 v[14:15], v28, s[4:5]
	s_add_i32 s15, s28, -8
	s_add_u32 s4, s4, 8
	s_addc_u32 s5, s5, 0
.LBB4_315:                              ;   in Loop: Header=BB4_292 Depth=1
	s_cmp_gt_u32 s15, 7
	s_cbranch_scc1 .LBB4_319
; %bb.316:                              ;   in Loop: Header=BB4_292 Depth=1
	s_cmp_eq_u32 s15, 0
	s_cbranch_scc1 .LBB4_320
; %bb.317:                              ;   in Loop: Header=BB4_292 Depth=1
	v_mov_b32_e32 v16, 0
	s_mov_b64 s[24:25], 0
	v_mov_b32_e32 v17, 0
	s_mov_b64 s[26:27], 0
.LBB4_318:                              ;   Parent Loop BB4_292 Depth=1
                                        ; =>  This Inner Loop Header: Depth=2
	s_add_u32 s28, s4, s26
	s_addc_u32 s29, s5, s27
	global_load_ubyte v4, v28, s[28:29]
	s_add_u32 s26, s26, 1
	s_addc_u32 s27, s27, 0
	s_waitcnt vmcnt(0)
	v_and_b32_e32 v27, 0xffff, v4
	v_lshlrev_b64 v[4:5], s24, v[27:28]
	s_add_u32 s24, s24, 8
	s_addc_u32 s25, s25, 0
	v_or_b32_e32 v16, v4, v16
	s_cmp_lg_u32 s15, s26
	v_or_b32_e32 v17, v5, v17
	s_cbranch_scc1 .LBB4_318
	s_branch .LBB4_321
.LBB4_319:                              ;   in Loop: Header=BB4_292 Depth=1
                                        ; implicit-def: $vgpr16_vgpr17
                                        ; implicit-def: $sgpr28
	s_branch .LBB4_322
.LBB4_320:                              ;   in Loop: Header=BB4_292 Depth=1
	v_mov_b32_e32 v16, 0
	v_mov_b32_e32 v17, 0
.LBB4_321:                              ;   in Loop: Header=BB4_292 Depth=1
	s_mov_b32 s28, 0
	s_cbranch_execnz .LBB4_323
.LBB4_322:                              ;   in Loop: Header=BB4_292 Depth=1
	global_load_dwordx2 v[16:17], v28, s[4:5]
	s_add_i32 s28, s15, -8
	s_add_u32 s4, s4, 8
	s_addc_u32 s5, s5, 0
.LBB4_323:                              ;   in Loop: Header=BB4_292 Depth=1
	s_cmp_gt_u32 s28, 7
	s_cbranch_scc1 .LBB4_327
; %bb.324:                              ;   in Loop: Header=BB4_292 Depth=1
	s_cmp_eq_u32 s28, 0
	s_cbranch_scc1 .LBB4_328
; %bb.325:                              ;   in Loop: Header=BB4_292 Depth=1
	v_mov_b32_e32 v18, 0
	s_mov_b64 s[24:25], 0
	v_mov_b32_e32 v19, 0
	s_mov_b64 s[26:27], 0
.LBB4_326:                              ;   Parent Loop BB4_292 Depth=1
                                        ; =>  This Inner Loop Header: Depth=2
	s_add_u32 vcc_lo, s4, s26
	s_addc_u32 vcc_hi, s5, s27
	global_load_ubyte v4, v28, vcc
	s_add_u32 s26, s26, 1
	s_addc_u32 s27, s27, 0
	s_waitcnt vmcnt(0)
	v_and_b32_e32 v27, 0xffff, v4
	v_lshlrev_b64 v[4:5], s24, v[27:28]
	s_add_u32 s24, s24, 8
	s_addc_u32 s25, s25, 0
	v_or_b32_e32 v18, v4, v18
	s_cmp_lg_u32 s28, s26
	v_or_b32_e32 v19, v5, v19
	s_cbranch_scc1 .LBB4_326
	s_branch .LBB4_329
.LBB4_327:                              ;   in Loop: Header=BB4_292 Depth=1
                                        ; implicit-def: $sgpr15
	s_branch .LBB4_330
.LBB4_328:                              ;   in Loop: Header=BB4_292 Depth=1
	v_mov_b32_e32 v18, 0
	v_mov_b32_e32 v19, 0
.LBB4_329:                              ;   in Loop: Header=BB4_292 Depth=1
	s_mov_b32 s15, 0
	s_cbranch_execnz .LBB4_331
.LBB4_330:                              ;   in Loop: Header=BB4_292 Depth=1
	global_load_dwordx2 v[18:19], v28, s[4:5]
	s_add_i32 s15, s28, -8
	s_add_u32 s4, s4, 8
	s_addc_u32 s5, s5, 0
.LBB4_331:                              ;   in Loop: Header=BB4_292 Depth=1
	s_cmp_gt_u32 s15, 7
	s_cbranch_scc1 .LBB4_335
; %bb.332:                              ;   in Loop: Header=BB4_292 Depth=1
	s_cmp_eq_u32 s15, 0
	s_cbranch_scc1 .LBB4_336
; %bb.333:                              ;   in Loop: Header=BB4_292 Depth=1
	v_mov_b32_e32 v20, 0
	s_mov_b64 s[24:25], 0
	v_mov_b32_e32 v21, 0
	s_mov_b64 s[26:27], 0
.LBB4_334:                              ;   Parent Loop BB4_292 Depth=1
                                        ; =>  This Inner Loop Header: Depth=2
	s_add_u32 s28, s4, s26
	s_addc_u32 s29, s5, s27
	global_load_ubyte v4, v28, s[28:29]
	s_add_u32 s26, s26, 1
	s_addc_u32 s27, s27, 0
	s_waitcnt vmcnt(0)
	v_and_b32_e32 v27, 0xffff, v4
	v_lshlrev_b64 v[4:5], s24, v[27:28]
	s_add_u32 s24, s24, 8
	s_addc_u32 s25, s25, 0
	v_or_b32_e32 v20, v4, v20
	s_cmp_lg_u32 s15, s26
	v_or_b32_e32 v21, v5, v21
	s_cbranch_scc1 .LBB4_334
	s_branch .LBB4_337
.LBB4_335:                              ;   in Loop: Header=BB4_292 Depth=1
                                        ; implicit-def: $vgpr20_vgpr21
                                        ; implicit-def: $sgpr28
	s_branch .LBB4_338
.LBB4_336:                              ;   in Loop: Header=BB4_292 Depth=1
	v_mov_b32_e32 v20, 0
	v_mov_b32_e32 v21, 0
.LBB4_337:                              ;   in Loop: Header=BB4_292 Depth=1
	s_mov_b32 s28, 0
	s_cbranch_execnz .LBB4_339
.LBB4_338:                              ;   in Loop: Header=BB4_292 Depth=1
	global_load_dwordx2 v[20:21], v28, s[4:5]
	s_add_i32 s28, s15, -8
	s_add_u32 s4, s4, 8
	s_addc_u32 s5, s5, 0
.LBB4_339:                              ;   in Loop: Header=BB4_292 Depth=1
	s_cmp_gt_u32 s28, 7
	s_cbranch_scc1 .LBB4_343
; %bb.340:                              ;   in Loop: Header=BB4_292 Depth=1
	s_cmp_eq_u32 s28, 0
	s_cbranch_scc1 .LBB4_344
; %bb.341:                              ;   in Loop: Header=BB4_292 Depth=1
	v_mov_b32_e32 v22, 0
	s_mov_b64 s[24:25], 0
	v_mov_b32_e32 v23, 0
	s_mov_b64 s[26:27], s[4:5]
.LBB4_342:                              ;   Parent Loop BB4_292 Depth=1
                                        ; =>  This Inner Loop Header: Depth=2
	global_load_ubyte v4, v28, s[26:27]
	s_add_i32 s28, s28, -1
	s_waitcnt vmcnt(0)
	v_and_b32_e32 v27, 0xffff, v4
	v_lshlrev_b64 v[4:5], s24, v[27:28]
	s_add_u32 s24, s24, 8
	s_addc_u32 s25, s25, 0
	s_add_u32 s26, s26, 1
	s_addc_u32 s27, s27, 0
	v_or_b32_e32 v22, v4, v22
	s_cmp_lg_u32 s28, 0
	v_or_b32_e32 v23, v5, v23
	s_cbranch_scc1 .LBB4_342
	s_branch .LBB4_345
.LBB4_343:                              ;   in Loop: Header=BB4_292 Depth=1
	s_branch .LBB4_346
.LBB4_344:                              ;   in Loop: Header=BB4_292 Depth=1
	v_mov_b32_e32 v22, 0
	v_mov_b32_e32 v23, 0
.LBB4_345:                              ;   in Loop: Header=BB4_292 Depth=1
	s_cbranch_execnz .LBB4_347
.LBB4_346:                              ;   in Loop: Header=BB4_292 Depth=1
	global_load_dwordx2 v[22:23], v28, s[4:5]
.LBB4_347:                              ;   in Loop: Header=BB4_292 Depth=1
	v_readfirstlane_b32 s4, v32
	s_waitcnt vmcnt(0)
	v_mov_b32_e32 v4, 0
	v_mov_b32_e32 v5, 0
	v_cmp_eq_u32_e64 s[4:5], s4, v32
	s_and_saveexec_b64 s[24:25], s[4:5]
	s_cbranch_execz .LBB4_353
; %bb.348:                              ;   in Loop: Header=BB4_292 Depth=1
	global_load_dwordx2 v[26:27], v28, s[6:7] offset:24 glc
	s_waitcnt vmcnt(0)
	buffer_wbinvl1_vol
	global_load_dwordx2 v[4:5], v28, s[6:7] offset:40
	global_load_dwordx2 v[8:9], v28, s[6:7]
	s_waitcnt vmcnt(1)
	v_and_b32_e32 v4, v4, v26
	v_and_b32_e32 v5, v5, v27
	v_mul_lo_u32 v5, v5, 24
	v_mul_hi_u32 v24, v4, 24
	v_mul_lo_u32 v4, v4, 24
	v_add_u32_e32 v5, v24, v5
	s_waitcnt vmcnt(0)
	v_add_co_u32_e32 v4, vcc, v8, v4
	v_addc_co_u32_e32 v5, vcc, v9, v5, vcc
	global_load_dwordx2 v[24:25], v[4:5], off glc
	s_waitcnt vmcnt(0)
	global_atomic_cmpswap_x2 v[4:5], v28, v[24:27], s[6:7] offset:24 glc
	s_waitcnt vmcnt(0)
	buffer_wbinvl1_vol
	v_cmp_ne_u64_e32 vcc, v[4:5], v[26:27]
	s_and_saveexec_b64 s[26:27], vcc
	s_cbranch_execz .LBB4_352
; %bb.349:                              ;   in Loop: Header=BB4_292 Depth=1
	s_mov_b64 s[28:29], 0
.LBB4_350:                              ;   Parent Loop BB4_292 Depth=1
                                        ; =>  This Inner Loop Header: Depth=2
	s_sleep 1
	global_load_dwordx2 v[8:9], v28, s[6:7] offset:40
	global_load_dwordx2 v[24:25], v28, s[6:7]
	v_mov_b32_e32 v27, v5
	v_mov_b32_e32 v26, v4
	s_waitcnt vmcnt(1)
	v_and_b32_e32 v4, v8, v26
	s_waitcnt vmcnt(0)
	v_mad_u64_u32 v[4:5], vcc, v4, 24, v[24:25]
	v_and_b32_e32 v8, v9, v27
	v_mad_u64_u32 v[8:9], vcc, v8, 24, v[5:6]
	v_mov_b32_e32 v5, v8
	global_load_dwordx2 v[24:25], v[4:5], off glc
	s_waitcnt vmcnt(0)
	global_atomic_cmpswap_x2 v[4:5], v28, v[24:27], s[6:7] offset:24 glc
	s_waitcnt vmcnt(0)
	buffer_wbinvl1_vol
	v_cmp_eq_u64_e32 vcc, v[4:5], v[26:27]
	s_or_b64 s[28:29], vcc, s[28:29]
	s_andn2_b64 exec, exec, s[28:29]
	s_cbranch_execnz .LBB4_350
; %bb.351:                              ;   in Loop: Header=BB4_292 Depth=1
	s_or_b64 exec, exec, s[28:29]
.LBB4_352:                              ;   in Loop: Header=BB4_292 Depth=1
	s_or_b64 exec, exec, s[26:27]
.LBB4_353:                              ;   in Loop: Header=BB4_292 Depth=1
	s_or_b64 exec, exec, s[24:25]
	global_load_dwordx2 v[8:9], v28, s[6:7] offset:40
	global_load_dwordx4 v[24:27], v28, s[6:7]
	v_readfirstlane_b32 s24, v4
	v_readfirstlane_b32 s25, v5
	s_mov_b64 s[26:27], exec
	s_waitcnt vmcnt(1)
	v_readfirstlane_b32 s28, v8
	v_readfirstlane_b32 s29, v9
	s_and_b64 s[28:29], s[24:25], s[28:29]
	s_mul_i32 s15, s29, 24
	s_mul_hi_u32 vcc_lo, s28, 24
	s_mul_i32 vcc_hi, s28, 24
	s_add_i32 s15, vcc_lo, s15
	v_mov_b32_e32 v4, s15
	s_waitcnt vmcnt(0)
	v_add_co_u32_e32 v29, vcc, vcc_hi, v24
	v_addc_co_u32_e32 v30, vcc, v25, v4, vcc
	s_and_saveexec_b64 vcc, s[4:5]
	s_cbranch_execz .LBB4_355
; %bb.354:                              ;   in Loop: Header=BB4_292 Depth=1
	v_mov_b32_e32 v4, s26
	v_mov_b32_e32 v5, s27
	global_store_dwordx4 v[29:30], v[4:7], off offset:8
.LBB4_355:                              ;   in Loop: Header=BB4_292 Depth=1
	s_or_b64 exec, exec, vcc
	s_lshl_b64 s[26:27], s[28:29], 12
	v_mov_b32_e32 v4, s27
	v_add_co_u32_e32 v26, vcc, s26, v26
	v_addc_co_u32_e32 v34, vcc, v27, v4, vcc
	v_cmp_gt_u64_e64 vcc, s[20:21], 56
	v_or_b32_e32 v5, v2, v33
	s_lshl_b32 s15, s22, 2
	v_cndmask_b32_e32 v2, v5, v2, vcc
	s_add_i32 s15, s15, 28
	v_or_b32_e32 v4, 0, v3
	s_and_b32 s15, s15, 0x1e0
	v_and_b32_e32 v2, 0xffffff1f, v2
	v_cndmask_b32_e32 v9, v4, v3, vcc
	v_or_b32_e32 v8, s15, v2
	v_readfirstlane_b32 s26, v26
	v_readfirstlane_b32 s27, v34
	s_nop 4
	global_store_dwordx4 v31, v[8:11], s[26:27]
	global_store_dwordx4 v31, v[12:15], s[26:27] offset:16
	global_store_dwordx4 v31, v[16:19], s[26:27] offset:32
	;; [unrolled: 1-line block ×3, first 2 shown]
	s_and_saveexec_b64 s[26:27], s[4:5]
	s_cbranch_execz .LBB4_363
; %bb.356:                              ;   in Loop: Header=BB4_292 Depth=1
	global_load_dwordx2 v[12:13], v28, s[6:7] offset:32 glc
	global_load_dwordx2 v[2:3], v28, s[6:7] offset:40
	v_mov_b32_e32 v10, s24
	v_mov_b32_e32 v11, s25
	s_waitcnt vmcnt(0)
	v_readfirstlane_b32 s28, v2
	v_readfirstlane_b32 s29, v3
	s_and_b64 s[28:29], s[28:29], s[24:25]
	s_mul_i32 s15, s29, 24
	s_mul_hi_u32 s29, s28, 24
	s_mul_i32 s28, s28, 24
	s_add_i32 s15, s29, s15
	v_mov_b32_e32 v2, s15
	v_add_co_u32_e32 v8, vcc, s28, v24
	v_addc_co_u32_e32 v9, vcc, v25, v2, vcc
	global_store_dwordx2 v[8:9], v[12:13], off
	s_waitcnt vmcnt(0)
	global_atomic_cmpswap_x2 v[4:5], v28, v[10:13], s[6:7] offset:32 glc
	s_waitcnt vmcnt(0)
	v_cmp_ne_u64_e32 vcc, v[4:5], v[12:13]
	s_and_saveexec_b64 s[28:29], vcc
	s_cbranch_execz .LBB4_359
; %bb.357:                              ;   in Loop: Header=BB4_292 Depth=1
	s_mov_b64 s[30:31], 0
.LBB4_358:                              ;   Parent Loop BB4_292 Depth=1
                                        ; =>  This Inner Loop Header: Depth=2
	s_sleep 1
	global_store_dwordx2 v[8:9], v[4:5], off
	v_mov_b32_e32 v2, s24
	v_mov_b32_e32 v3, s25
	s_waitcnt vmcnt(0)
	global_atomic_cmpswap_x2 v[2:3], v28, v[2:5], s[6:7] offset:32 glc
	s_waitcnt vmcnt(0)
	v_cmp_eq_u64_e32 vcc, v[2:3], v[4:5]
	v_mov_b32_e32 v5, v3
	s_or_b64 s[30:31], vcc, s[30:31]
	v_mov_b32_e32 v4, v2
	s_andn2_b64 exec, exec, s[30:31]
	s_cbranch_execnz .LBB4_358
.LBB4_359:                              ;   in Loop: Header=BB4_292 Depth=1
	s_or_b64 exec, exec, s[28:29]
	global_load_dwordx2 v[2:3], v28, s[6:7] offset:16
	s_mov_b64 s[30:31], exec
	v_mbcnt_lo_u32_b32 v4, s30, 0
	v_mbcnt_hi_u32_b32 v4, s31, v4
	v_cmp_eq_u32_e32 vcc, 0, v4
	s_and_saveexec_b64 s[28:29], vcc
	s_cbranch_execz .LBB4_361
; %bb.360:                              ;   in Loop: Header=BB4_292 Depth=1
	s_bcnt1_i32_b64 s15, s[30:31]
	v_mov_b32_e32 v27, s15
	s_waitcnt vmcnt(0)
	global_atomic_add_x2 v[2:3], v[27:28], off offset:8
.LBB4_361:                              ;   in Loop: Header=BB4_292 Depth=1
	s_or_b64 exec, exec, s[28:29]
	s_waitcnt vmcnt(0)
	global_load_dwordx2 v[4:5], v[2:3], off offset:16
	s_waitcnt vmcnt(0)
	v_cmp_eq_u64_e32 vcc, 0, v[4:5]
	s_cbranch_vccnz .LBB4_363
; %bb.362:                              ;   in Loop: Header=BB4_292 Depth=1
	global_load_dword v27, v[2:3], off offset:24
	s_waitcnt vmcnt(0)
	v_and_b32_e32 v2, 0xffffff, v27
	v_readfirstlane_b32 m0, v2
	global_store_dwordx2 v[4:5], v[27:28], off
	s_sendmsg sendmsg(MSG_INTERRUPT)
.LBB4_363:                              ;   in Loop: Header=BB4_292 Depth=1
	s_or_b64 exec, exec, s[26:27]
	v_add_co_u32_e32 v2, vcc, v26, v31
	v_addc_co_u32_e32 v3, vcc, 0, v34, vcc
	s_branch .LBB4_367
.LBB4_364:                              ;   in Loop: Header=BB4_367 Depth=2
	s_or_b64 exec, exec, s[26:27]
	v_readfirstlane_b32 s15, v4
	s_cmp_eq_u32 s15, 0
	s_cbranch_scc1 .LBB4_366
; %bb.365:                              ;   in Loop: Header=BB4_367 Depth=2
	s_sleep 1
	s_cbranch_execnz .LBB4_367
	s_branch .LBB4_369
.LBB4_366:                              ;   in Loop: Header=BB4_292 Depth=1
	s_branch .LBB4_369
.LBB4_367:                              ;   Parent Loop BB4_292 Depth=1
                                        ; =>  This Inner Loop Header: Depth=2
	v_mov_b32_e32 v4, 1
	s_and_saveexec_b64 s[26:27], s[4:5]
	s_cbranch_execz .LBB4_364
; %bb.368:                              ;   in Loop: Header=BB4_367 Depth=2
	global_load_dword v4, v[29:30], off offset:20 glc
	s_waitcnt vmcnt(0)
	buffer_wbinvl1_vol
	v_and_b32_e32 v4, 1, v4
	s_branch .LBB4_364
.LBB4_369:                              ;   in Loop: Header=BB4_292 Depth=1
	global_load_dwordx4 v[2:5], v[2:3], off
	s_and_saveexec_b64 s[26:27], s[4:5]
	s_cbranch_execz .LBB4_291
; %bb.370:                              ;   in Loop: Header=BB4_292 Depth=1
	global_load_dwordx2 v[4:5], v28, s[6:7] offset:40
	global_load_dwordx2 v[12:13], v28, s[6:7] offset:24 glc
	global_load_dwordx2 v[14:15], v28, s[6:7]
	v_mov_b32_e32 v9, s25
	s_waitcnt vmcnt(2)
	v_add_co_u32_e32 v10, vcc, 1, v4
	v_addc_co_u32_e32 v11, vcc, 0, v5, vcc
	v_add_co_u32_e32 v8, vcc, s24, v10
	v_addc_co_u32_e32 v9, vcc, v11, v9, vcc
	v_cmp_eq_u64_e32 vcc, 0, v[8:9]
	v_cndmask_b32_e32 v9, v9, v11, vcc
	v_cndmask_b32_e32 v8, v8, v10, vcc
	v_and_b32_e32 v5, v9, v5
	v_and_b32_e32 v4, v8, v4
	v_mul_lo_u32 v5, v5, 24
	v_mul_hi_u32 v11, v4, 24
	v_mul_lo_u32 v4, v4, 24
	s_waitcnt vmcnt(1)
	v_mov_b32_e32 v10, v12
	v_add_u32_e32 v5, v11, v5
	s_waitcnt vmcnt(0)
	v_add_co_u32_e32 v4, vcc, v14, v4
	v_addc_co_u32_e32 v5, vcc, v15, v5, vcc
	global_store_dwordx2 v[4:5], v[12:13], off
	v_mov_b32_e32 v11, v13
	s_waitcnt vmcnt(0)
	global_atomic_cmpswap_x2 v[10:11], v28, v[8:11], s[6:7] offset:24 glc
	s_waitcnt vmcnt(0)
	v_cmp_ne_u64_e32 vcc, v[10:11], v[12:13]
	s_and_b64 exec, exec, vcc
	s_cbranch_execz .LBB4_291
; %bb.371:                              ;   in Loop: Header=BB4_292 Depth=1
	s_mov_b64 s[4:5], 0
.LBB4_372:                              ;   Parent Loop BB4_292 Depth=1
                                        ; =>  This Inner Loop Header: Depth=2
	s_sleep 1
	global_store_dwordx2 v[4:5], v[10:11], off
	s_waitcnt vmcnt(0)
	global_atomic_cmpswap_x2 v[12:13], v28, v[8:11], s[6:7] offset:24 glc
	s_waitcnt vmcnt(0)
	v_cmp_eq_u64_e32 vcc, v[12:13], v[10:11]
	v_mov_b32_e32 v10, v12
	s_or_b64 s[4:5], vcc, s[4:5]
	v_mov_b32_e32 v11, v13
	s_andn2_b64 exec, exec, s[4:5]
	s_cbranch_execnz .LBB4_372
	s_branch .LBB4_291
.LBB4_373:
	s_branch .LBB4_401
.LBB4_374:
                                        ; implicit-def: $vgpr2_vgpr3
	s_cbranch_execz .LBB4_401
; %bb.375:
	v_readfirstlane_b32 s4, v32
	v_mov_b32_e32 v8, 0
	v_mov_b32_e32 v9, 0
	v_cmp_eq_u32_e64 s[4:5], s4, v32
	s_and_saveexec_b64 s[18:19], s[4:5]
	s_cbranch_execz .LBB4_381
; %bb.376:
	s_waitcnt vmcnt(0)
	v_mov_b32_e32 v2, 0
	global_load_dwordx2 v[5:6], v2, s[6:7] offset:24 glc
	s_waitcnt vmcnt(0)
	buffer_wbinvl1_vol
	global_load_dwordx2 v[3:4], v2, s[6:7] offset:40
	global_load_dwordx2 v[7:8], v2, s[6:7]
	s_waitcnt vmcnt(1)
	v_and_b32_e32 v3, v3, v5
	v_and_b32_e32 v4, v4, v6
	v_mul_lo_u32 v4, v4, 24
	v_mul_hi_u32 v9, v3, 24
	v_mul_lo_u32 v3, v3, 24
	v_add_u32_e32 v4, v9, v4
	s_waitcnt vmcnt(0)
	v_add_co_u32_e32 v3, vcc, v7, v3
	v_addc_co_u32_e32 v4, vcc, v8, v4, vcc
	global_load_dwordx2 v[3:4], v[3:4], off glc
	s_waitcnt vmcnt(0)
	global_atomic_cmpswap_x2 v[8:9], v2, v[3:6], s[6:7] offset:24 glc
	s_waitcnt vmcnt(0)
	buffer_wbinvl1_vol
	v_cmp_ne_u64_e32 vcc, v[8:9], v[5:6]
	s_and_saveexec_b64 s[20:21], vcc
	s_cbranch_execz .LBB4_380
; %bb.377:
	s_mov_b64 s[22:23], 0
.LBB4_378:                              ; =>This Inner Loop Header: Depth=1
	s_sleep 1
	global_load_dwordx2 v[3:4], v2, s[6:7] offset:40
	global_load_dwordx2 v[10:11], v2, s[6:7]
	v_mov_b32_e32 v5, v8
	v_mov_b32_e32 v6, v9
	s_waitcnt vmcnt(1)
	v_and_b32_e32 v3, v3, v5
	s_waitcnt vmcnt(0)
	v_mad_u64_u32 v[7:8], s[24:25], v3, 24, v[10:11]
	v_and_b32_e32 v4, v4, v6
	v_mov_b32_e32 v3, v8
	v_mad_u64_u32 v[3:4], s[24:25], v4, 24, v[3:4]
	v_mov_b32_e32 v8, v3
	global_load_dwordx2 v[3:4], v[7:8], off glc
	s_waitcnt vmcnt(0)
	global_atomic_cmpswap_x2 v[8:9], v2, v[3:6], s[6:7] offset:24 glc
	s_waitcnt vmcnt(0)
	buffer_wbinvl1_vol
	v_cmp_eq_u64_e32 vcc, v[8:9], v[5:6]
	s_or_b64 s[22:23], vcc, s[22:23]
	s_andn2_b64 exec, exec, s[22:23]
	s_cbranch_execnz .LBB4_378
; %bb.379:
	s_or_b64 exec, exec, s[22:23]
.LBB4_380:
	s_or_b64 exec, exec, s[20:21]
.LBB4_381:
	s_or_b64 exec, exec, s[18:19]
	s_waitcnt vmcnt(0)
	v_mov_b32_e32 v2, 0
	global_load_dwordx2 v[10:11], v2, s[6:7] offset:40
	global_load_dwordx4 v[4:7], v2, s[6:7]
	v_readfirstlane_b32 s18, v8
	v_readfirstlane_b32 s19, v9
	s_mov_b64 s[20:21], exec
	s_waitcnt vmcnt(1)
	v_readfirstlane_b32 s22, v10
	v_readfirstlane_b32 s23, v11
	s_and_b64 s[22:23], s[18:19], s[22:23]
	s_mul_i32 s15, s23, 24
	s_mul_hi_u32 s24, s22, 24
	s_mul_i32 s25, s22, 24
	s_add_i32 s15, s24, s15
	v_mov_b32_e32 v3, s15
	s_waitcnt vmcnt(0)
	v_add_co_u32_e32 v8, vcc, s25, v4
	v_addc_co_u32_e32 v9, vcc, v5, v3, vcc
	s_and_saveexec_b64 s[24:25], s[4:5]
	s_cbranch_execz .LBB4_383
; %bb.382:
	v_mov_b32_e32 v10, s20
	v_mov_b32_e32 v11, s21
	;; [unrolled: 1-line block ×4, first 2 shown]
	global_store_dwordx4 v[8:9], v[10:13], off offset:8
.LBB4_383:
	s_or_b64 exec, exec, s[24:25]
	s_lshl_b64 s[20:21], s[22:23], 12
	v_mov_b32_e32 v3, s21
	v_add_co_u32_e32 v10, vcc, s20, v6
	v_addc_co_u32_e32 v11, vcc, v7, v3, vcc
	s_movk_i32 s15, 0xff1f
	v_and_or_b32 v0, v0, s15, 32
	s_mov_b32 s20, 0
	v_mov_b32_e32 v3, v2
	v_readfirstlane_b32 s24, v10
	v_readfirstlane_b32 s25, v11
	v_add_co_u32_e32 v6, vcc, v10, v31
	s_mov_b32 s21, s20
	s_mov_b32 s22, s20
	;; [unrolled: 1-line block ×3, first 2 shown]
	s_nop 0
	global_store_dwordx4 v31, v[0:3], s[24:25]
	v_addc_co_u32_e32 v7, vcc, 0, v11, vcc
	v_mov_b32_e32 v0, s20
	v_mov_b32_e32 v1, s21
	;; [unrolled: 1-line block ×4, first 2 shown]
	global_store_dwordx4 v31, v[0:3], s[24:25] offset:16
	global_store_dwordx4 v31, v[0:3], s[24:25] offset:32
	;; [unrolled: 1-line block ×3, first 2 shown]
	s_and_saveexec_b64 s[20:21], s[4:5]
	s_cbranch_execz .LBB4_391
; %bb.384:
	v_mov_b32_e32 v10, 0
	global_load_dwordx2 v[13:14], v10, s[6:7] offset:32 glc
	global_load_dwordx2 v[0:1], v10, s[6:7] offset:40
	v_mov_b32_e32 v11, s18
	v_mov_b32_e32 v12, s19
	s_waitcnt vmcnt(0)
	v_readfirstlane_b32 s22, v0
	v_readfirstlane_b32 s23, v1
	s_and_b64 s[22:23], s[22:23], s[18:19]
	s_mul_i32 s15, s23, 24
	s_mul_hi_u32 s23, s22, 24
	s_mul_i32 s22, s22, 24
	s_add_i32 s15, s23, s15
	v_mov_b32_e32 v0, s15
	v_add_co_u32_e32 v4, vcc, s22, v4
	v_addc_co_u32_e32 v5, vcc, v5, v0, vcc
	global_store_dwordx2 v[4:5], v[13:14], off
	s_waitcnt vmcnt(0)
	global_atomic_cmpswap_x2 v[2:3], v10, v[11:14], s[6:7] offset:32 glc
	s_waitcnt vmcnt(0)
	v_cmp_ne_u64_e32 vcc, v[2:3], v[13:14]
	s_and_saveexec_b64 s[22:23], vcc
	s_cbranch_execz .LBB4_387
; %bb.385:
	s_mov_b64 s[24:25], 0
.LBB4_386:                              ; =>This Inner Loop Header: Depth=1
	s_sleep 1
	global_store_dwordx2 v[4:5], v[2:3], off
	v_mov_b32_e32 v0, s18
	v_mov_b32_e32 v1, s19
	s_waitcnt vmcnt(0)
	global_atomic_cmpswap_x2 v[0:1], v10, v[0:3], s[6:7] offset:32 glc
	s_waitcnt vmcnt(0)
	v_cmp_eq_u64_e32 vcc, v[0:1], v[2:3]
	v_mov_b32_e32 v3, v1
	s_or_b64 s[24:25], vcc, s[24:25]
	v_mov_b32_e32 v2, v0
	s_andn2_b64 exec, exec, s[24:25]
	s_cbranch_execnz .LBB4_386
.LBB4_387:
	s_or_b64 exec, exec, s[22:23]
	v_mov_b32_e32 v3, 0
	global_load_dwordx2 v[0:1], v3, s[6:7] offset:16
	s_mov_b64 s[22:23], exec
	v_mbcnt_lo_u32_b32 v2, s22, 0
	v_mbcnt_hi_u32_b32 v2, s23, v2
	v_cmp_eq_u32_e32 vcc, 0, v2
	s_and_saveexec_b64 s[24:25], vcc
	s_cbranch_execz .LBB4_389
; %bb.388:
	s_bcnt1_i32_b64 s15, s[22:23]
	v_mov_b32_e32 v2, s15
	s_waitcnt vmcnt(0)
	global_atomic_add_x2 v[0:1], v[2:3], off offset:8
.LBB4_389:
	s_or_b64 exec, exec, s[24:25]
	s_waitcnt vmcnt(0)
	global_load_dwordx2 v[2:3], v[0:1], off offset:16
	s_waitcnt vmcnt(0)
	v_cmp_eq_u64_e32 vcc, 0, v[2:3]
	s_cbranch_vccnz .LBB4_391
; %bb.390:
	global_load_dword v0, v[0:1], off offset:24
	v_mov_b32_e32 v1, 0
	s_waitcnt vmcnt(0)
	global_store_dwordx2 v[2:3], v[0:1], off
	v_and_b32_e32 v0, 0xffffff, v0
	v_readfirstlane_b32 m0, v0
	s_sendmsg sendmsg(MSG_INTERRUPT)
.LBB4_391:
	s_or_b64 exec, exec, s[20:21]
	s_branch .LBB4_395
.LBB4_392:                              ;   in Loop: Header=BB4_395 Depth=1
	s_or_b64 exec, exec, s[20:21]
	v_readfirstlane_b32 s15, v0
	s_cmp_eq_u32 s15, 0
	s_cbranch_scc1 .LBB4_394
; %bb.393:                              ;   in Loop: Header=BB4_395 Depth=1
	s_sleep 1
	s_cbranch_execnz .LBB4_395
	s_branch .LBB4_397
.LBB4_394:
	s_branch .LBB4_397
.LBB4_395:                              ; =>This Inner Loop Header: Depth=1
	v_mov_b32_e32 v0, 1
	s_and_saveexec_b64 s[20:21], s[4:5]
	s_cbranch_execz .LBB4_392
; %bb.396:                              ;   in Loop: Header=BB4_395 Depth=1
	global_load_dword v0, v[8:9], off offset:20 glc
	s_waitcnt vmcnt(0)
	buffer_wbinvl1_vol
	v_and_b32_e32 v0, 1, v0
	s_branch .LBB4_392
.LBB4_397:
	global_load_dwordx2 v[2:3], v[6:7], off
	s_and_saveexec_b64 s[20:21], s[4:5]
	s_cbranch_execz .LBB4_400
; %bb.398:
	v_mov_b32_e32 v8, 0
	global_load_dwordx2 v[0:1], v8, s[6:7] offset:40
	global_load_dwordx2 v[9:10], v8, s[6:7] offset:24 glc
	global_load_dwordx2 v[11:12], v8, s[6:7]
	v_mov_b32_e32 v5, s19
	s_mov_b64 s[4:5], 0
	s_waitcnt vmcnt(2)
	v_add_co_u32_e32 v6, vcc, 1, v0
	v_addc_co_u32_e32 v7, vcc, 0, v1, vcc
	v_add_co_u32_e32 v4, vcc, s18, v6
	v_addc_co_u32_e32 v5, vcc, v7, v5, vcc
	v_cmp_eq_u64_e32 vcc, 0, v[4:5]
	v_cndmask_b32_e32 v5, v5, v7, vcc
	v_cndmask_b32_e32 v4, v4, v6, vcc
	v_and_b32_e32 v1, v5, v1
	v_and_b32_e32 v0, v4, v0
	v_mul_lo_u32 v1, v1, 24
	v_mul_hi_u32 v7, v0, 24
	v_mul_lo_u32 v0, v0, 24
	s_waitcnt vmcnt(1)
	v_mov_b32_e32 v6, v9
	v_add_u32_e32 v1, v7, v1
	s_waitcnt vmcnt(0)
	v_add_co_u32_e32 v0, vcc, v11, v0
	v_addc_co_u32_e32 v1, vcc, v12, v1, vcc
	global_store_dwordx2 v[0:1], v[9:10], off
	v_mov_b32_e32 v7, v10
	s_waitcnt vmcnt(0)
	global_atomic_cmpswap_x2 v[6:7], v8, v[4:7], s[6:7] offset:24 glc
	s_waitcnt vmcnt(0)
	v_cmp_ne_u64_e32 vcc, v[6:7], v[9:10]
	s_and_b64 exec, exec, vcc
	s_cbranch_execz .LBB4_400
.LBB4_399:                              ; =>This Inner Loop Header: Depth=1
	s_sleep 1
	global_store_dwordx2 v[0:1], v[6:7], off
	s_waitcnt vmcnt(0)
	global_atomic_cmpswap_x2 v[9:10], v8, v[4:7], s[6:7] offset:24 glc
	s_waitcnt vmcnt(0)
	v_cmp_eq_u64_e32 vcc, v[9:10], v[6:7]
	v_mov_b32_e32 v6, v9
	s_or_b64 s[4:5], vcc, s[4:5]
	v_mov_b32_e32 v7, v10
	s_andn2_b64 exec, exec, s[4:5]
	s_cbranch_execnz .LBB4_399
.LBB4_400:
	s_or_b64 exec, exec, s[20:21]
.LBB4_401:
	v_readfirstlane_b32 s4, v32
	s_waitcnt vmcnt(0)
	v_mov_b32_e32 v0, 0
	v_mov_b32_e32 v1, 0
	v_cmp_eq_u32_e64 s[4:5], s4, v32
	s_and_saveexec_b64 s[18:19], s[4:5]
	s_cbranch_execz .LBB4_407
; %bb.402:
	v_mov_b32_e32 v4, 0
	global_load_dwordx2 v[7:8], v4, s[6:7] offset:24 glc
	s_waitcnt vmcnt(0)
	buffer_wbinvl1_vol
	global_load_dwordx2 v[0:1], v4, s[6:7] offset:40
	global_load_dwordx2 v[5:6], v4, s[6:7]
	s_waitcnt vmcnt(1)
	v_and_b32_e32 v0, v0, v7
	v_and_b32_e32 v1, v1, v8
	v_mul_lo_u32 v1, v1, 24
	v_mul_hi_u32 v9, v0, 24
	v_mul_lo_u32 v0, v0, 24
	v_add_u32_e32 v1, v9, v1
	s_waitcnt vmcnt(0)
	v_add_co_u32_e32 v0, vcc, v5, v0
	v_addc_co_u32_e32 v1, vcc, v6, v1, vcc
	global_load_dwordx2 v[5:6], v[0:1], off glc
	s_waitcnt vmcnt(0)
	global_atomic_cmpswap_x2 v[0:1], v4, v[5:8], s[6:7] offset:24 glc
	s_waitcnt vmcnt(0)
	buffer_wbinvl1_vol
	v_cmp_ne_u64_e32 vcc, v[0:1], v[7:8]
	s_and_saveexec_b64 s[20:21], vcc
	s_cbranch_execz .LBB4_406
; %bb.403:
	s_mov_b64 s[22:23], 0
.LBB4_404:                              ; =>This Inner Loop Header: Depth=1
	s_sleep 1
	global_load_dwordx2 v[5:6], v4, s[6:7] offset:40
	global_load_dwordx2 v[9:10], v4, s[6:7]
	v_mov_b32_e32 v8, v1
	v_mov_b32_e32 v7, v0
	s_waitcnt vmcnt(1)
	v_and_b32_e32 v0, v5, v7
	s_waitcnt vmcnt(0)
	v_mad_u64_u32 v[0:1], s[24:25], v0, 24, v[9:10]
	v_and_b32_e32 v5, v6, v8
	v_mad_u64_u32 v[5:6], s[24:25], v5, 24, v[1:2]
	v_mov_b32_e32 v1, v5
	global_load_dwordx2 v[5:6], v[0:1], off glc
	s_waitcnt vmcnt(0)
	global_atomic_cmpswap_x2 v[0:1], v4, v[5:8], s[6:7] offset:24 glc
	s_waitcnt vmcnt(0)
	buffer_wbinvl1_vol
	v_cmp_eq_u64_e32 vcc, v[0:1], v[7:8]
	s_or_b64 s[22:23], vcc, s[22:23]
	s_andn2_b64 exec, exec, s[22:23]
	s_cbranch_execnz .LBB4_404
; %bb.405:
	s_or_b64 exec, exec, s[22:23]
.LBB4_406:
	s_or_b64 exec, exec, s[20:21]
.LBB4_407:
	s_or_b64 exec, exec, s[18:19]
	v_mov_b32_e32 v5, 0
	global_load_dwordx2 v[10:11], v5, s[6:7] offset:40
	global_load_dwordx4 v[6:9], v5, s[6:7]
	v_readfirstlane_b32 s18, v0
	v_readfirstlane_b32 s19, v1
	s_mov_b64 s[20:21], exec
	s_waitcnt vmcnt(1)
	v_readfirstlane_b32 s22, v10
	v_readfirstlane_b32 s23, v11
	s_and_b64 s[22:23], s[18:19], s[22:23]
	s_mul_i32 s15, s23, 24
	s_mul_hi_u32 s24, s22, 24
	s_mul_i32 s25, s22, 24
	s_add_i32 s15, s24, s15
	v_mov_b32_e32 v0, s15
	s_waitcnt vmcnt(0)
	v_add_co_u32_e32 v10, vcc, s25, v6
	v_addc_co_u32_e32 v11, vcc, v7, v0, vcc
	s_and_saveexec_b64 s[24:25], s[4:5]
	s_cbranch_execz .LBB4_409
; %bb.408:
	v_mov_b32_e32 v12, s20
	v_mov_b32_e32 v13, s21
	;; [unrolled: 1-line block ×4, first 2 shown]
	global_store_dwordx4 v[10:11], v[12:15], off offset:8
.LBB4_409:
	s_or_b64 exec, exec, s[24:25]
	s_lshl_b64 s[20:21], s[22:23], 12
	v_mov_b32_e32 v0, s21
	v_add_co_u32_e32 v1, vcc, s20, v8
	v_addc_co_u32_e32 v0, vcc, v9, v0, vcc
	s_movk_i32 s15, 0xff1d
	v_and_or_b32 v2, v2, s15, 34
	s_mov_b32 s20, 0
	v_mov_b32_e32 v4, 10
	v_readfirstlane_b32 s24, v1
	v_readfirstlane_b32 s25, v0
	s_mov_b32 s21, s20
	s_mov_b32 s22, s20
	;; [unrolled: 1-line block ×3, first 2 shown]
	s_nop 1
	global_store_dwordx4 v31, v[2:5], s[24:25]
	v_mov_b32_e32 v0, s20
	v_mov_b32_e32 v1, s21
	;; [unrolled: 1-line block ×4, first 2 shown]
	global_store_dwordx4 v31, v[0:3], s[24:25] offset:16
	global_store_dwordx4 v31, v[0:3], s[24:25] offset:32
	;; [unrolled: 1-line block ×3, first 2 shown]
	s_and_saveexec_b64 s[20:21], s[4:5]
	s_cbranch_execz .LBB4_417
; %bb.410:
	v_mov_b32_e32 v8, 0
	global_load_dwordx2 v[14:15], v8, s[6:7] offset:32 glc
	global_load_dwordx2 v[0:1], v8, s[6:7] offset:40
	v_mov_b32_e32 v12, s18
	v_mov_b32_e32 v13, s19
	s_waitcnt vmcnt(0)
	v_readfirstlane_b32 s22, v0
	v_readfirstlane_b32 s23, v1
	s_and_b64 s[22:23], s[22:23], s[18:19]
	s_mul_i32 s15, s23, 24
	s_mul_hi_u32 s23, s22, 24
	s_mul_i32 s22, s22, 24
	s_add_i32 s15, s23, s15
	v_mov_b32_e32 v0, s15
	v_add_co_u32_e32 v4, vcc, s22, v6
	v_addc_co_u32_e32 v5, vcc, v7, v0, vcc
	global_store_dwordx2 v[4:5], v[14:15], off
	s_waitcnt vmcnt(0)
	global_atomic_cmpswap_x2 v[2:3], v8, v[12:15], s[6:7] offset:32 glc
	s_waitcnt vmcnt(0)
	v_cmp_ne_u64_e32 vcc, v[2:3], v[14:15]
	s_and_saveexec_b64 s[22:23], vcc
	s_cbranch_execz .LBB4_413
; %bb.411:
	s_mov_b64 s[24:25], 0
.LBB4_412:                              ; =>This Inner Loop Header: Depth=1
	s_sleep 1
	global_store_dwordx2 v[4:5], v[2:3], off
	v_mov_b32_e32 v0, s18
	v_mov_b32_e32 v1, s19
	s_waitcnt vmcnt(0)
	global_atomic_cmpswap_x2 v[0:1], v8, v[0:3], s[6:7] offset:32 glc
	s_waitcnt vmcnt(0)
	v_cmp_eq_u64_e32 vcc, v[0:1], v[2:3]
	v_mov_b32_e32 v3, v1
	s_or_b64 s[24:25], vcc, s[24:25]
	v_mov_b32_e32 v2, v0
	s_andn2_b64 exec, exec, s[24:25]
	s_cbranch_execnz .LBB4_412
.LBB4_413:
	s_or_b64 exec, exec, s[22:23]
	v_mov_b32_e32 v3, 0
	global_load_dwordx2 v[0:1], v3, s[6:7] offset:16
	s_mov_b64 s[22:23], exec
	v_mbcnt_lo_u32_b32 v2, s22, 0
	v_mbcnt_hi_u32_b32 v2, s23, v2
	v_cmp_eq_u32_e32 vcc, 0, v2
	s_and_saveexec_b64 s[24:25], vcc
	s_cbranch_execz .LBB4_415
; %bb.414:
	s_bcnt1_i32_b64 s15, s[22:23]
	v_mov_b32_e32 v2, s15
	s_waitcnt vmcnt(0)
	global_atomic_add_x2 v[0:1], v[2:3], off offset:8
.LBB4_415:
	s_or_b64 exec, exec, s[24:25]
	s_waitcnt vmcnt(0)
	global_load_dwordx2 v[2:3], v[0:1], off offset:16
	s_waitcnt vmcnt(0)
	v_cmp_eq_u64_e32 vcc, 0, v[2:3]
	s_cbranch_vccnz .LBB4_417
; %bb.416:
	global_load_dword v0, v[0:1], off offset:24
	v_mov_b32_e32 v1, 0
	s_waitcnt vmcnt(0)
	global_store_dwordx2 v[2:3], v[0:1], off
	v_and_b32_e32 v0, 0xffffff, v0
	v_readfirstlane_b32 m0, v0
	s_sendmsg sendmsg(MSG_INTERRUPT)
.LBB4_417:
	s_or_b64 exec, exec, s[20:21]
	s_branch .LBB4_421
.LBB4_418:                              ;   in Loop: Header=BB4_421 Depth=1
	s_or_b64 exec, exec, s[20:21]
	v_readfirstlane_b32 s15, v0
	s_cmp_eq_u32 s15, 0
	s_cbranch_scc1 .LBB4_420
; %bb.419:                              ;   in Loop: Header=BB4_421 Depth=1
	s_sleep 1
	s_cbranch_execnz .LBB4_421
	s_branch .LBB4_423
.LBB4_420:
	s_branch .LBB4_423
.LBB4_421:                              ; =>This Inner Loop Header: Depth=1
	v_mov_b32_e32 v0, 1
	s_and_saveexec_b64 s[20:21], s[4:5]
	s_cbranch_execz .LBB4_418
; %bb.422:                              ;   in Loop: Header=BB4_421 Depth=1
	global_load_dword v0, v[10:11], off offset:20 glc
	s_waitcnt vmcnt(0)
	buffer_wbinvl1_vol
	v_and_b32_e32 v0, 1, v0
	s_branch .LBB4_418
.LBB4_423:
	s_and_saveexec_b64 s[20:21], s[4:5]
	s_cbranch_execz .LBB4_426
; %bb.424:
	v_mov_b32_e32 v6, 0
	global_load_dwordx2 v[2:3], v6, s[6:7] offset:40
	global_load_dwordx2 v[7:8], v6, s[6:7] offset:24 glc
	global_load_dwordx2 v[4:5], v6, s[6:7]
	v_mov_b32_e32 v1, s19
	s_mov_b64 s[4:5], 0
	s_waitcnt vmcnt(2)
	v_add_co_u32_e32 v9, vcc, 1, v2
	v_addc_co_u32_e32 v10, vcc, 0, v3, vcc
	v_add_co_u32_e32 v0, vcc, s18, v9
	v_addc_co_u32_e32 v1, vcc, v10, v1, vcc
	v_cmp_eq_u64_e32 vcc, 0, v[0:1]
	v_cndmask_b32_e32 v1, v1, v10, vcc
	v_cndmask_b32_e32 v0, v0, v9, vcc
	v_and_b32_e32 v3, v1, v3
	v_and_b32_e32 v2, v0, v2
	v_mul_lo_u32 v3, v3, 24
	v_mul_hi_u32 v9, v2, 24
	v_mul_lo_u32 v10, v2, 24
	s_waitcnt vmcnt(1)
	v_mov_b32_e32 v2, v7
	v_add_u32_e32 v3, v9, v3
	s_waitcnt vmcnt(0)
	v_add_co_u32_e32 v4, vcc, v4, v10
	v_addc_co_u32_e32 v5, vcc, v5, v3, vcc
	global_store_dwordx2 v[4:5], v[7:8], off
	v_mov_b32_e32 v3, v8
	s_waitcnt vmcnt(0)
	global_atomic_cmpswap_x2 v[2:3], v6, v[0:3], s[6:7] offset:24 glc
	s_waitcnt vmcnt(0)
	v_cmp_ne_u64_e32 vcc, v[2:3], v[7:8]
	s_and_b64 exec, exec, vcc
	s_cbranch_execz .LBB4_426
.LBB4_425:                              ; =>This Inner Loop Header: Depth=1
	s_sleep 1
	global_store_dwordx2 v[4:5], v[2:3], off
	s_waitcnt vmcnt(0)
	global_atomic_cmpswap_x2 v[7:8], v6, v[0:3], s[6:7] offset:24 glc
	s_waitcnt vmcnt(0)
	v_cmp_eq_u64_e32 vcc, v[7:8], v[2:3]
	v_mov_b32_e32 v2, v7
	s_or_b64 s[4:5], vcc, s[4:5]
	v_mov_b32_e32 v3, v8
	s_andn2_b64 exec, exec, s[4:5]
	s_cbranch_execnz .LBB4_425
.LBB4_426:
	s_or_b64 exec, exec, s[20:21]
	v_readfirstlane_b32 s4, v32
	v_mov_b32_e32 v5, 0
	v_mov_b32_e32 v6, 0
	v_cmp_eq_u32_e64 s[4:5], s4, v32
	s_and_saveexec_b64 s[18:19], s[4:5]
	s_cbranch_execz .LBB4_432
; %bb.427:
	v_mov_b32_e32 v0, 0
	global_load_dwordx2 v[3:4], v0, s[6:7] offset:24 glc
	s_waitcnt vmcnt(0)
	buffer_wbinvl1_vol
	global_load_dwordx2 v[1:2], v0, s[6:7] offset:40
	global_load_dwordx2 v[5:6], v0, s[6:7]
	s_waitcnt vmcnt(1)
	v_and_b32_e32 v1, v1, v3
	v_and_b32_e32 v2, v2, v4
	v_mul_lo_u32 v2, v2, 24
	v_mul_hi_u32 v7, v1, 24
	v_mul_lo_u32 v1, v1, 24
	v_add_u32_e32 v2, v7, v2
	s_waitcnt vmcnt(0)
	v_add_co_u32_e32 v1, vcc, v5, v1
	v_addc_co_u32_e32 v2, vcc, v6, v2, vcc
	global_load_dwordx2 v[1:2], v[1:2], off glc
	s_waitcnt vmcnt(0)
	global_atomic_cmpswap_x2 v[5:6], v0, v[1:4], s[6:7] offset:24 glc
	s_waitcnt vmcnt(0)
	buffer_wbinvl1_vol
	v_cmp_ne_u64_e32 vcc, v[5:6], v[3:4]
	s_and_saveexec_b64 s[20:21], vcc
	s_cbranch_execz .LBB4_431
; %bb.428:
	s_mov_b64 s[22:23], 0
.LBB4_429:                              ; =>This Inner Loop Header: Depth=1
	s_sleep 1
	global_load_dwordx2 v[1:2], v0, s[6:7] offset:40
	global_load_dwordx2 v[7:8], v0, s[6:7]
	v_mov_b32_e32 v3, v5
	v_mov_b32_e32 v4, v6
	s_waitcnt vmcnt(1)
	v_and_b32_e32 v1, v1, v3
	s_waitcnt vmcnt(0)
	v_mad_u64_u32 v[5:6], s[24:25], v1, 24, v[7:8]
	v_and_b32_e32 v2, v2, v4
	v_mov_b32_e32 v1, v6
	v_mad_u64_u32 v[1:2], s[24:25], v2, 24, v[1:2]
	v_mov_b32_e32 v6, v1
	global_load_dwordx2 v[1:2], v[5:6], off glc
	s_waitcnt vmcnt(0)
	global_atomic_cmpswap_x2 v[5:6], v0, v[1:4], s[6:7] offset:24 glc
	s_waitcnt vmcnt(0)
	buffer_wbinvl1_vol
	v_cmp_eq_u64_e32 vcc, v[5:6], v[3:4]
	s_or_b64 s[22:23], vcc, s[22:23]
	s_andn2_b64 exec, exec, s[22:23]
	s_cbranch_execnz .LBB4_429
; %bb.430:
	s_or_b64 exec, exec, s[22:23]
.LBB4_431:
	s_or_b64 exec, exec, s[20:21]
.LBB4_432:
	s_or_b64 exec, exec, s[18:19]
	v_mov_b32_e32 v4, 0
	global_load_dwordx2 v[7:8], v4, s[6:7] offset:40
	global_load_dwordx4 v[0:3], v4, s[6:7]
	v_readfirstlane_b32 s18, v5
	v_readfirstlane_b32 s19, v6
	s_mov_b64 s[20:21], exec
	s_waitcnt vmcnt(1)
	v_readfirstlane_b32 s22, v7
	v_readfirstlane_b32 s23, v8
	s_and_b64 s[22:23], s[18:19], s[22:23]
	s_mul_i32 s15, s23, 24
	s_mul_hi_u32 s24, s22, 24
	s_mul_i32 s25, s22, 24
	s_add_i32 s15, s24, s15
	v_mov_b32_e32 v5, s15
	s_waitcnt vmcnt(0)
	v_add_co_u32_e32 v7, vcc, s25, v0
	v_addc_co_u32_e32 v8, vcc, v1, v5, vcc
	s_and_saveexec_b64 s[24:25], s[4:5]
	s_cbranch_execz .LBB4_434
; %bb.433:
	v_mov_b32_e32 v9, s20
	v_mov_b32_e32 v10, s21
	;; [unrolled: 1-line block ×4, first 2 shown]
	global_store_dwordx4 v[7:8], v[9:12], off offset:8
.LBB4_434:
	s_or_b64 exec, exec, s[24:25]
	s_lshl_b64 s[20:21], s[22:23], 12
	v_mov_b32_e32 v5, s21
	v_add_co_u32_e32 v2, vcc, s20, v2
	v_addc_co_u32_e32 v11, vcc, v3, v5, vcc
	s_mov_b32 s20, 0
	v_mov_b32_e32 v3, 33
	v_mov_b32_e32 v5, v4
	;; [unrolled: 1-line block ×3, first 2 shown]
	v_readfirstlane_b32 s24, v2
	v_readfirstlane_b32 s25, v11
	v_add_co_u32_e32 v9, vcc, v2, v31
	s_mov_b32 s21, s20
	s_mov_b32 s22, s20
	s_mov_b32 s23, s20
	s_nop 0
	global_store_dwordx4 v31, v[3:6], s[24:25]
	v_mov_b32_e32 v2, s20
	v_addc_co_u32_e32 v10, vcc, 0, v11, vcc
	v_mov_b32_e32 v3, s21
	v_mov_b32_e32 v4, s22
	;; [unrolled: 1-line block ×3, first 2 shown]
	global_store_dwordx4 v31, v[2:5], s[24:25] offset:16
	global_store_dwordx4 v31, v[2:5], s[24:25] offset:32
	;; [unrolled: 1-line block ×3, first 2 shown]
	s_and_saveexec_b64 s[20:21], s[4:5]
	s_cbranch_execz .LBB4_442
; %bb.435:
	v_mov_b32_e32 v6, 0
	global_load_dwordx2 v[13:14], v6, s[6:7] offset:32 glc
	global_load_dwordx2 v[2:3], v6, s[6:7] offset:40
	v_mov_b32_e32 v11, s18
	v_mov_b32_e32 v12, s19
	s_waitcnt vmcnt(0)
	v_readfirstlane_b32 s22, v2
	v_readfirstlane_b32 s23, v3
	s_and_b64 s[22:23], s[22:23], s[18:19]
	s_mul_i32 s15, s23, 24
	s_mul_hi_u32 s23, s22, 24
	s_mul_i32 s22, s22, 24
	s_add_i32 s15, s23, s15
	v_mov_b32_e32 v2, s15
	v_add_co_u32_e32 v4, vcc, s22, v0
	v_addc_co_u32_e32 v5, vcc, v1, v2, vcc
	global_store_dwordx2 v[4:5], v[13:14], off
	s_waitcnt vmcnt(0)
	global_atomic_cmpswap_x2 v[2:3], v6, v[11:14], s[6:7] offset:32 glc
	s_waitcnt vmcnt(0)
	v_cmp_ne_u64_e32 vcc, v[2:3], v[13:14]
	s_and_saveexec_b64 s[22:23], vcc
	s_cbranch_execz .LBB4_438
; %bb.436:
	s_mov_b64 s[24:25], 0
.LBB4_437:                              ; =>This Inner Loop Header: Depth=1
	s_sleep 1
	global_store_dwordx2 v[4:5], v[2:3], off
	v_mov_b32_e32 v0, s18
	v_mov_b32_e32 v1, s19
	s_waitcnt vmcnt(0)
	global_atomic_cmpswap_x2 v[0:1], v6, v[0:3], s[6:7] offset:32 glc
	s_waitcnt vmcnt(0)
	v_cmp_eq_u64_e32 vcc, v[0:1], v[2:3]
	v_mov_b32_e32 v3, v1
	s_or_b64 s[24:25], vcc, s[24:25]
	v_mov_b32_e32 v2, v0
	s_andn2_b64 exec, exec, s[24:25]
	s_cbranch_execnz .LBB4_437
.LBB4_438:
	s_or_b64 exec, exec, s[22:23]
	v_mov_b32_e32 v3, 0
	global_load_dwordx2 v[0:1], v3, s[6:7] offset:16
	s_mov_b64 s[22:23], exec
	v_mbcnt_lo_u32_b32 v2, s22, 0
	v_mbcnt_hi_u32_b32 v2, s23, v2
	v_cmp_eq_u32_e32 vcc, 0, v2
	s_and_saveexec_b64 s[24:25], vcc
	s_cbranch_execz .LBB4_440
; %bb.439:
	s_bcnt1_i32_b64 s15, s[22:23]
	v_mov_b32_e32 v2, s15
	s_waitcnt vmcnt(0)
	global_atomic_add_x2 v[0:1], v[2:3], off offset:8
.LBB4_440:
	s_or_b64 exec, exec, s[24:25]
	s_waitcnt vmcnt(0)
	global_load_dwordx2 v[2:3], v[0:1], off offset:16
	s_waitcnt vmcnt(0)
	v_cmp_eq_u64_e32 vcc, 0, v[2:3]
	s_cbranch_vccnz .LBB4_442
; %bb.441:
	global_load_dword v0, v[0:1], off offset:24
	v_mov_b32_e32 v1, 0
	s_waitcnt vmcnt(0)
	global_store_dwordx2 v[2:3], v[0:1], off
	v_and_b32_e32 v0, 0xffffff, v0
	v_readfirstlane_b32 m0, v0
	s_sendmsg sendmsg(MSG_INTERRUPT)
.LBB4_442:
	s_or_b64 exec, exec, s[20:21]
	s_branch .LBB4_446
.LBB4_443:                              ;   in Loop: Header=BB4_446 Depth=1
	s_or_b64 exec, exec, s[20:21]
	v_readfirstlane_b32 s15, v0
	s_cmp_eq_u32 s15, 0
	s_cbranch_scc1 .LBB4_445
; %bb.444:                              ;   in Loop: Header=BB4_446 Depth=1
	s_sleep 1
	s_cbranch_execnz .LBB4_446
	s_branch .LBB4_448
.LBB4_445:
	s_branch .LBB4_448
.LBB4_446:                              ; =>This Inner Loop Header: Depth=1
	v_mov_b32_e32 v0, 1
	s_and_saveexec_b64 s[20:21], s[4:5]
	s_cbranch_execz .LBB4_443
; %bb.447:                              ;   in Loop: Header=BB4_446 Depth=1
	global_load_dword v0, v[7:8], off offset:20 glc
	s_waitcnt vmcnt(0)
	buffer_wbinvl1_vol
	v_and_b32_e32 v0, 1, v0
	s_branch .LBB4_443
.LBB4_448:
	global_load_dwordx2 v[4:5], v[9:10], off
	s_and_saveexec_b64 s[20:21], s[4:5]
	s_cbranch_execz .LBB4_451
; %bb.449:
	v_mov_b32_e32 v8, 0
	global_load_dwordx2 v[2:3], v8, s[6:7] offset:40
	global_load_dwordx2 v[9:10], v8, s[6:7] offset:24 glc
	global_load_dwordx2 v[6:7], v8, s[6:7]
	v_mov_b32_e32 v1, s19
	s_mov_b64 s[4:5], 0
	s_waitcnt vmcnt(2)
	v_add_co_u32_e32 v11, vcc, 1, v2
	v_addc_co_u32_e32 v12, vcc, 0, v3, vcc
	v_add_co_u32_e32 v0, vcc, s18, v11
	v_addc_co_u32_e32 v1, vcc, v12, v1, vcc
	v_cmp_eq_u64_e32 vcc, 0, v[0:1]
	v_cndmask_b32_e32 v1, v1, v12, vcc
	v_cndmask_b32_e32 v0, v0, v11, vcc
	v_and_b32_e32 v3, v1, v3
	v_and_b32_e32 v2, v0, v2
	v_mul_lo_u32 v3, v3, 24
	v_mul_hi_u32 v11, v2, 24
	v_mul_lo_u32 v12, v2, 24
	s_waitcnt vmcnt(1)
	v_mov_b32_e32 v2, v9
	v_add_u32_e32 v3, v11, v3
	s_waitcnt vmcnt(0)
	v_add_co_u32_e32 v6, vcc, v6, v12
	v_addc_co_u32_e32 v7, vcc, v7, v3, vcc
	global_store_dwordx2 v[6:7], v[9:10], off
	v_mov_b32_e32 v3, v10
	s_waitcnt vmcnt(0)
	global_atomic_cmpswap_x2 v[2:3], v8, v[0:3], s[6:7] offset:24 glc
	s_waitcnt vmcnt(0)
	v_cmp_ne_u64_e32 vcc, v[2:3], v[9:10]
	s_and_b64 exec, exec, vcc
	s_cbranch_execz .LBB4_451
.LBB4_450:                              ; =>This Inner Loop Header: Depth=1
	s_sleep 1
	global_store_dwordx2 v[6:7], v[2:3], off
	s_waitcnt vmcnt(0)
	global_atomic_cmpswap_x2 v[9:10], v8, v[0:3], s[6:7] offset:24 glc
	s_waitcnt vmcnt(0)
	v_cmp_eq_u64_e32 vcc, v[9:10], v[2:3]
	v_mov_b32_e32 v2, v9
	s_or_b64 s[4:5], vcc, s[4:5]
	v_mov_b32_e32 v3, v10
	s_andn2_b64 exec, exec, s[4:5]
	s_cbranch_execnz .LBB4_450
.LBB4_451:
	s_or_b64 exec, exec, s[20:21]
	s_and_b64 vcc, exec, s[10:11]
	s_cbranch_vccz .LBB4_536
; %bb.452:
	s_waitcnt vmcnt(0)
	v_and_b32_e32 v29, 2, v4
	v_mov_b32_e32 v26, 0
	v_and_b32_e32 v0, -3, v4
	v_mov_b32_e32 v1, v5
	s_mov_b64 s[20:21], 3
	v_mov_b32_e32 v8, 2
	v_mov_b32_e32 v9, 1
	s_getpc_b64 s[18:19]
	s_add_u32 s18, s18, .str.5@rel32@lo+4
	s_addc_u32 s19, s19, .str.5@rel32@hi+12
	s_branch .LBB4_454
.LBB4_453:                              ;   in Loop: Header=BB4_454 Depth=1
	s_or_b64 exec, exec, s[26:27]
	s_sub_u32 s20, s20, s22
	s_subb_u32 s21, s21, s23
	s_add_u32 s18, s18, s22
	s_addc_u32 s19, s19, s23
	s_cmp_lg_u64 s[20:21], 0
	s_cbranch_scc0 .LBB4_535
.LBB4_454:                              ; =>This Loop Header: Depth=1
                                        ;     Child Loop BB4_457 Depth 2
                                        ;     Child Loop BB4_464 Depth 2
	;; [unrolled: 1-line block ×11, first 2 shown]
	v_cmp_lt_u64_e64 s[4:5], s[20:21], 56
	v_cmp_gt_u64_e64 s[24:25], s[20:21], 7
	s_and_b64 s[4:5], s[4:5], exec
	s_cselect_b32 s23, s21, 0
	s_cselect_b32 s22, s20, 56
	s_and_b64 vcc, exec, s[24:25]
	s_cbranch_vccnz .LBB4_459
; %bb.455:                              ;   in Loop: Header=BB4_454 Depth=1
	s_waitcnt vmcnt(0)
	v_mov_b32_e32 v2, 0
	s_cmp_eq_u64 s[20:21], 0
	v_mov_b32_e32 v3, 0
	s_mov_b64 s[4:5], 0
	s_cbranch_scc1 .LBB4_458
; %bb.456:                              ;   in Loop: Header=BB4_454 Depth=1
	v_mov_b32_e32 v2, 0
	s_lshl_b64 s[24:25], s[22:23], 3
	s_mov_b64 s[26:27], 0
	v_mov_b32_e32 v3, 0
	s_mov_b64 s[28:29], s[18:19]
.LBB4_457:                              ;   Parent Loop BB4_454 Depth=1
                                        ; =>  This Inner Loop Header: Depth=2
	global_load_ubyte v6, v26, s[28:29]
	s_waitcnt vmcnt(0)
	v_and_b32_e32 v25, 0xffff, v6
	v_lshlrev_b64 v[6:7], s26, v[25:26]
	s_add_u32 s26, s26, 8
	s_addc_u32 s27, s27, 0
	s_add_u32 s28, s28, 1
	s_addc_u32 s29, s29, 0
	v_or_b32_e32 v2, v6, v2
	s_cmp_lg_u32 s24, s26
	v_or_b32_e32 v3, v7, v3
	s_cbranch_scc1 .LBB4_457
.LBB4_458:                              ;   in Loop: Header=BB4_454 Depth=1
	s_mov_b32 s15, 0
	s_andn2_b64 vcc, exec, s[4:5]
	s_mov_b64 s[4:5], s[18:19]
	s_cbranch_vccz .LBB4_460
	s_branch .LBB4_461
.LBB4_459:                              ;   in Loop: Header=BB4_454 Depth=1
                                        ; implicit-def: $vgpr2_vgpr3
                                        ; implicit-def: $sgpr15
	s_mov_b64 s[4:5], s[18:19]
.LBB4_460:                              ;   in Loop: Header=BB4_454 Depth=1
	global_load_dwordx2 v[2:3], v26, s[18:19]
	s_add_i32 s15, s22, -8
	s_add_u32 s4, s18, 8
	s_addc_u32 s5, s19, 0
.LBB4_461:                              ;   in Loop: Header=BB4_454 Depth=1
	s_cmp_gt_u32 s15, 7
	s_cbranch_scc1 .LBB4_465
; %bb.462:                              ;   in Loop: Header=BB4_454 Depth=1
	s_cmp_eq_u32 s15, 0
	s_cbranch_scc1 .LBB4_466
; %bb.463:                              ;   in Loop: Header=BB4_454 Depth=1
	v_mov_b32_e32 v10, 0
	s_mov_b64 s[24:25], 0
	v_mov_b32_e32 v11, 0
	s_mov_b64 s[26:27], 0
.LBB4_464:                              ;   Parent Loop BB4_454 Depth=1
                                        ; =>  This Inner Loop Header: Depth=2
	s_add_u32 s28, s4, s26
	s_addc_u32 s29, s5, s27
	global_load_ubyte v6, v26, s[28:29]
	s_add_u32 s26, s26, 1
	s_addc_u32 s27, s27, 0
	s_waitcnt vmcnt(0)
	v_and_b32_e32 v25, 0xffff, v6
	v_lshlrev_b64 v[6:7], s24, v[25:26]
	s_add_u32 s24, s24, 8
	s_addc_u32 s25, s25, 0
	v_or_b32_e32 v10, v6, v10
	s_cmp_lg_u32 s15, s26
	v_or_b32_e32 v11, v7, v11
	s_cbranch_scc1 .LBB4_464
	s_branch .LBB4_467
.LBB4_465:                              ;   in Loop: Header=BB4_454 Depth=1
                                        ; implicit-def: $vgpr10_vgpr11
                                        ; implicit-def: $sgpr28
	s_branch .LBB4_468
.LBB4_466:                              ;   in Loop: Header=BB4_454 Depth=1
	v_mov_b32_e32 v10, 0
	v_mov_b32_e32 v11, 0
.LBB4_467:                              ;   in Loop: Header=BB4_454 Depth=1
	s_mov_b32 s28, 0
	s_cbranch_execnz .LBB4_469
.LBB4_468:                              ;   in Loop: Header=BB4_454 Depth=1
	global_load_dwordx2 v[10:11], v26, s[4:5]
	s_add_i32 s28, s15, -8
	s_add_u32 s4, s4, 8
	s_addc_u32 s5, s5, 0
.LBB4_469:                              ;   in Loop: Header=BB4_454 Depth=1
	s_cmp_gt_u32 s28, 7
	s_cbranch_scc1 .LBB4_473
; %bb.470:                              ;   in Loop: Header=BB4_454 Depth=1
	s_cmp_eq_u32 s28, 0
	s_cbranch_scc1 .LBB4_474
; %bb.471:                              ;   in Loop: Header=BB4_454 Depth=1
	v_mov_b32_e32 v12, 0
	s_mov_b64 s[24:25], 0
	v_mov_b32_e32 v13, 0
	s_mov_b64 s[26:27], 0
.LBB4_472:                              ;   Parent Loop BB4_454 Depth=1
                                        ; =>  This Inner Loop Header: Depth=2
	s_add_u32 vcc_lo, s4, s26
	s_addc_u32 vcc_hi, s5, s27
	global_load_ubyte v6, v26, vcc
	s_add_u32 s26, s26, 1
	s_addc_u32 s27, s27, 0
	s_waitcnt vmcnt(0)
	v_and_b32_e32 v25, 0xffff, v6
	v_lshlrev_b64 v[6:7], s24, v[25:26]
	s_add_u32 s24, s24, 8
	s_addc_u32 s25, s25, 0
	v_or_b32_e32 v12, v6, v12
	s_cmp_lg_u32 s28, s26
	v_or_b32_e32 v13, v7, v13
	s_cbranch_scc1 .LBB4_472
	s_branch .LBB4_475
.LBB4_473:                              ;   in Loop: Header=BB4_454 Depth=1
                                        ; implicit-def: $sgpr15
	s_branch .LBB4_476
.LBB4_474:                              ;   in Loop: Header=BB4_454 Depth=1
	v_mov_b32_e32 v12, 0
	v_mov_b32_e32 v13, 0
.LBB4_475:                              ;   in Loop: Header=BB4_454 Depth=1
	s_mov_b32 s15, 0
	s_cbranch_execnz .LBB4_477
.LBB4_476:                              ;   in Loop: Header=BB4_454 Depth=1
	global_load_dwordx2 v[12:13], v26, s[4:5]
	s_add_i32 s15, s28, -8
	s_add_u32 s4, s4, 8
	s_addc_u32 s5, s5, 0
.LBB4_477:                              ;   in Loop: Header=BB4_454 Depth=1
	s_cmp_gt_u32 s15, 7
	s_cbranch_scc1 .LBB4_481
; %bb.478:                              ;   in Loop: Header=BB4_454 Depth=1
	s_cmp_eq_u32 s15, 0
	s_cbranch_scc1 .LBB4_482
; %bb.479:                              ;   in Loop: Header=BB4_454 Depth=1
	v_mov_b32_e32 v14, 0
	s_mov_b64 s[24:25], 0
	v_mov_b32_e32 v15, 0
	s_mov_b64 s[26:27], 0
.LBB4_480:                              ;   Parent Loop BB4_454 Depth=1
                                        ; =>  This Inner Loop Header: Depth=2
	s_add_u32 s28, s4, s26
	s_addc_u32 s29, s5, s27
	global_load_ubyte v6, v26, s[28:29]
	s_add_u32 s26, s26, 1
	s_addc_u32 s27, s27, 0
	s_waitcnt vmcnt(0)
	v_and_b32_e32 v25, 0xffff, v6
	v_lshlrev_b64 v[6:7], s24, v[25:26]
	s_add_u32 s24, s24, 8
	s_addc_u32 s25, s25, 0
	v_or_b32_e32 v14, v6, v14
	s_cmp_lg_u32 s15, s26
	v_or_b32_e32 v15, v7, v15
	s_cbranch_scc1 .LBB4_480
	s_branch .LBB4_483
.LBB4_481:                              ;   in Loop: Header=BB4_454 Depth=1
                                        ; implicit-def: $vgpr14_vgpr15
                                        ; implicit-def: $sgpr28
	s_branch .LBB4_484
.LBB4_482:                              ;   in Loop: Header=BB4_454 Depth=1
	v_mov_b32_e32 v14, 0
	v_mov_b32_e32 v15, 0
.LBB4_483:                              ;   in Loop: Header=BB4_454 Depth=1
	s_mov_b32 s28, 0
	s_cbranch_execnz .LBB4_485
.LBB4_484:                              ;   in Loop: Header=BB4_454 Depth=1
	global_load_dwordx2 v[14:15], v26, s[4:5]
	s_add_i32 s28, s15, -8
	s_add_u32 s4, s4, 8
	s_addc_u32 s5, s5, 0
.LBB4_485:                              ;   in Loop: Header=BB4_454 Depth=1
	s_cmp_gt_u32 s28, 7
	s_cbranch_scc1 .LBB4_489
; %bb.486:                              ;   in Loop: Header=BB4_454 Depth=1
	s_cmp_eq_u32 s28, 0
	s_cbranch_scc1 .LBB4_490
; %bb.487:                              ;   in Loop: Header=BB4_454 Depth=1
	v_mov_b32_e32 v16, 0
	s_mov_b64 s[24:25], 0
	v_mov_b32_e32 v17, 0
	s_mov_b64 s[26:27], 0
.LBB4_488:                              ;   Parent Loop BB4_454 Depth=1
                                        ; =>  This Inner Loop Header: Depth=2
	s_add_u32 vcc_lo, s4, s26
	s_addc_u32 vcc_hi, s5, s27
	global_load_ubyte v6, v26, vcc
	s_add_u32 s26, s26, 1
	s_addc_u32 s27, s27, 0
	s_waitcnt vmcnt(0)
	v_and_b32_e32 v25, 0xffff, v6
	v_lshlrev_b64 v[6:7], s24, v[25:26]
	s_add_u32 s24, s24, 8
	s_addc_u32 s25, s25, 0
	v_or_b32_e32 v16, v6, v16
	s_cmp_lg_u32 s28, s26
	v_or_b32_e32 v17, v7, v17
	s_cbranch_scc1 .LBB4_488
	s_branch .LBB4_491
.LBB4_489:                              ;   in Loop: Header=BB4_454 Depth=1
                                        ; implicit-def: $sgpr15
	s_branch .LBB4_492
.LBB4_490:                              ;   in Loop: Header=BB4_454 Depth=1
	v_mov_b32_e32 v16, 0
	v_mov_b32_e32 v17, 0
.LBB4_491:                              ;   in Loop: Header=BB4_454 Depth=1
	s_mov_b32 s15, 0
	s_cbranch_execnz .LBB4_493
.LBB4_492:                              ;   in Loop: Header=BB4_454 Depth=1
	global_load_dwordx2 v[16:17], v26, s[4:5]
	s_add_i32 s15, s28, -8
	s_add_u32 s4, s4, 8
	s_addc_u32 s5, s5, 0
.LBB4_493:                              ;   in Loop: Header=BB4_454 Depth=1
	s_cmp_gt_u32 s15, 7
	s_cbranch_scc1 .LBB4_497
; %bb.494:                              ;   in Loop: Header=BB4_454 Depth=1
	s_cmp_eq_u32 s15, 0
	s_cbranch_scc1 .LBB4_498
; %bb.495:                              ;   in Loop: Header=BB4_454 Depth=1
	v_mov_b32_e32 v18, 0
	s_mov_b64 s[24:25], 0
	v_mov_b32_e32 v19, 0
	s_mov_b64 s[26:27], 0
.LBB4_496:                              ;   Parent Loop BB4_454 Depth=1
                                        ; =>  This Inner Loop Header: Depth=2
	s_add_u32 s28, s4, s26
	s_addc_u32 s29, s5, s27
	global_load_ubyte v6, v26, s[28:29]
	s_add_u32 s26, s26, 1
	s_addc_u32 s27, s27, 0
	s_waitcnt vmcnt(0)
	v_and_b32_e32 v25, 0xffff, v6
	v_lshlrev_b64 v[6:7], s24, v[25:26]
	s_add_u32 s24, s24, 8
	s_addc_u32 s25, s25, 0
	v_or_b32_e32 v18, v6, v18
	s_cmp_lg_u32 s15, s26
	v_or_b32_e32 v19, v7, v19
	s_cbranch_scc1 .LBB4_496
	s_branch .LBB4_499
.LBB4_497:                              ;   in Loop: Header=BB4_454 Depth=1
                                        ; implicit-def: $vgpr18_vgpr19
                                        ; implicit-def: $sgpr28
	s_branch .LBB4_500
.LBB4_498:                              ;   in Loop: Header=BB4_454 Depth=1
	v_mov_b32_e32 v18, 0
	v_mov_b32_e32 v19, 0
.LBB4_499:                              ;   in Loop: Header=BB4_454 Depth=1
	s_mov_b32 s28, 0
	s_cbranch_execnz .LBB4_501
.LBB4_500:                              ;   in Loop: Header=BB4_454 Depth=1
	global_load_dwordx2 v[18:19], v26, s[4:5]
	s_add_i32 s28, s15, -8
	s_add_u32 s4, s4, 8
	s_addc_u32 s5, s5, 0
.LBB4_501:                              ;   in Loop: Header=BB4_454 Depth=1
	s_cmp_gt_u32 s28, 7
	s_cbranch_scc1 .LBB4_505
; %bb.502:                              ;   in Loop: Header=BB4_454 Depth=1
	s_cmp_eq_u32 s28, 0
	s_cbranch_scc1 .LBB4_506
; %bb.503:                              ;   in Loop: Header=BB4_454 Depth=1
	v_mov_b32_e32 v20, 0
	s_mov_b64 s[24:25], 0
	v_mov_b32_e32 v21, 0
	s_mov_b64 s[26:27], s[4:5]
.LBB4_504:                              ;   Parent Loop BB4_454 Depth=1
                                        ; =>  This Inner Loop Header: Depth=2
	global_load_ubyte v6, v26, s[26:27]
	s_add_i32 s28, s28, -1
	s_waitcnt vmcnt(0)
	v_and_b32_e32 v25, 0xffff, v6
	v_lshlrev_b64 v[6:7], s24, v[25:26]
	s_add_u32 s24, s24, 8
	s_addc_u32 s25, s25, 0
	s_add_u32 s26, s26, 1
	s_addc_u32 s27, s27, 0
	v_or_b32_e32 v20, v6, v20
	s_cmp_lg_u32 s28, 0
	v_or_b32_e32 v21, v7, v21
	s_cbranch_scc1 .LBB4_504
	s_branch .LBB4_507
.LBB4_505:                              ;   in Loop: Header=BB4_454 Depth=1
	s_branch .LBB4_508
.LBB4_506:                              ;   in Loop: Header=BB4_454 Depth=1
	v_mov_b32_e32 v20, 0
	v_mov_b32_e32 v21, 0
.LBB4_507:                              ;   in Loop: Header=BB4_454 Depth=1
	s_cbranch_execnz .LBB4_509
.LBB4_508:                              ;   in Loop: Header=BB4_454 Depth=1
	global_load_dwordx2 v[20:21], v26, s[4:5]
.LBB4_509:                              ;   in Loop: Header=BB4_454 Depth=1
	v_readfirstlane_b32 s4, v32
	v_mov_b32_e32 v6, 0
	v_mov_b32_e32 v7, 0
	v_cmp_eq_u32_e64 s[4:5], s4, v32
	s_and_saveexec_b64 s[24:25], s[4:5]
	s_cbranch_execz .LBB4_515
; %bb.510:                              ;   in Loop: Header=BB4_454 Depth=1
	global_load_dwordx2 v[24:25], v26, s[6:7] offset:24 glc
	s_waitcnt vmcnt(0)
	buffer_wbinvl1_vol
	global_load_dwordx2 v[6:7], v26, s[6:7] offset:40
	global_load_dwordx2 v[22:23], v26, s[6:7]
	s_waitcnt vmcnt(1)
	v_and_b32_e32 v6, v6, v24
	v_and_b32_e32 v7, v7, v25
	v_mul_lo_u32 v7, v7, 24
	v_mul_hi_u32 v27, v6, 24
	v_mul_lo_u32 v6, v6, 24
	v_add_u32_e32 v7, v27, v7
	s_waitcnt vmcnt(0)
	v_add_co_u32_e32 v6, vcc, v22, v6
	v_addc_co_u32_e32 v7, vcc, v23, v7, vcc
	global_load_dwordx2 v[22:23], v[6:7], off glc
	s_waitcnt vmcnt(0)
	global_atomic_cmpswap_x2 v[6:7], v26, v[22:25], s[6:7] offset:24 glc
	s_waitcnt vmcnt(0)
	buffer_wbinvl1_vol
	v_cmp_ne_u64_e32 vcc, v[6:7], v[24:25]
	s_and_saveexec_b64 s[26:27], vcc
	s_cbranch_execz .LBB4_514
; %bb.511:                              ;   in Loop: Header=BB4_454 Depth=1
	s_mov_b64 s[28:29], 0
.LBB4_512:                              ;   Parent Loop BB4_454 Depth=1
                                        ; =>  This Inner Loop Header: Depth=2
	s_sleep 1
	global_load_dwordx2 v[22:23], v26, s[6:7] offset:40
	global_load_dwordx2 v[27:28], v26, s[6:7]
	v_mov_b32_e32 v25, v7
	v_mov_b32_e32 v24, v6
	s_waitcnt vmcnt(1)
	v_and_b32_e32 v6, v22, v24
	s_waitcnt vmcnt(0)
	v_mad_u64_u32 v[6:7], vcc, v6, 24, v[27:28]
	v_and_b32_e32 v22, v23, v25
	v_mad_u64_u32 v[22:23], vcc, v22, 24, v[7:8]
	v_mov_b32_e32 v7, v22
	global_load_dwordx2 v[22:23], v[6:7], off glc
	s_waitcnt vmcnt(0)
	global_atomic_cmpswap_x2 v[6:7], v26, v[22:25], s[6:7] offset:24 glc
	s_waitcnt vmcnt(0)
	buffer_wbinvl1_vol
	v_cmp_eq_u64_e32 vcc, v[6:7], v[24:25]
	s_or_b64 s[28:29], vcc, s[28:29]
	s_andn2_b64 exec, exec, s[28:29]
	s_cbranch_execnz .LBB4_512
; %bb.513:                              ;   in Loop: Header=BB4_454 Depth=1
	s_or_b64 exec, exec, s[28:29]
.LBB4_514:                              ;   in Loop: Header=BB4_454 Depth=1
	s_or_b64 exec, exec, s[26:27]
.LBB4_515:                              ;   in Loop: Header=BB4_454 Depth=1
	s_or_b64 exec, exec, s[24:25]
	global_load_dwordx2 v[27:28], v26, s[6:7] offset:40
	global_load_dwordx4 v[22:25], v26, s[6:7]
	v_readfirstlane_b32 s24, v6
	v_readfirstlane_b32 s25, v7
	s_mov_b64 s[26:27], exec
	s_waitcnt vmcnt(1)
	v_readfirstlane_b32 s28, v27
	v_readfirstlane_b32 s29, v28
	s_and_b64 s[28:29], s[24:25], s[28:29]
	s_mul_i32 s15, s29, 24
	s_mul_hi_u32 vcc_lo, s28, 24
	s_mul_i32 vcc_hi, s28, 24
	s_add_i32 s15, vcc_lo, s15
	v_mov_b32_e32 v6, s15
	s_waitcnt vmcnt(0)
	v_add_co_u32_e32 v27, vcc, vcc_hi, v22
	v_addc_co_u32_e32 v28, vcc, v23, v6, vcc
	s_and_saveexec_b64 vcc, s[4:5]
	s_cbranch_execz .LBB4_517
; %bb.516:                              ;   in Loop: Header=BB4_454 Depth=1
	v_mov_b32_e32 v6, s26
	v_mov_b32_e32 v7, s27
	global_store_dwordx4 v[27:28], v[6:9], off offset:8
.LBB4_517:                              ;   in Loop: Header=BB4_454 Depth=1
	s_or_b64 exec, exec, vcc
	s_lshl_b64 s[26:27], s[28:29], 12
	v_mov_b32_e32 v6, s27
	v_add_co_u32_e32 v24, vcc, s26, v24
	v_addc_co_u32_e32 v30, vcc, v25, v6, vcc
	v_cmp_gt_u64_e64 vcc, s[20:21], 56
	v_or_b32_e32 v7, v0, v29
	s_lshl_b32 s15, s22, 2
	v_cndmask_b32_e32 v0, v7, v0, vcc
	s_add_i32 s15, s15, 28
	v_or_b32_e32 v6, 0, v1
	s_and_b32 s15, s15, 0x1e0
	v_and_b32_e32 v0, 0xffffff1f, v0
	v_cndmask_b32_e32 v1, v6, v1, vcc
	v_or_b32_e32 v0, s15, v0
	v_readfirstlane_b32 s26, v24
	v_readfirstlane_b32 s27, v30
	s_nop 4
	global_store_dwordx4 v31, v[0:3], s[26:27]
	global_store_dwordx4 v31, v[10:13], s[26:27] offset:16
	global_store_dwordx4 v31, v[14:17], s[26:27] offset:32
	global_store_dwordx4 v31, v[18:21], s[26:27] offset:48
	s_and_saveexec_b64 s[26:27], s[4:5]
	s_cbranch_execz .LBB4_525
; %bb.518:                              ;   in Loop: Header=BB4_454 Depth=1
	global_load_dwordx2 v[12:13], v26, s[6:7] offset:32 glc
	global_load_dwordx2 v[0:1], v26, s[6:7] offset:40
	v_mov_b32_e32 v10, s24
	v_mov_b32_e32 v11, s25
	s_waitcnt vmcnt(0)
	v_readfirstlane_b32 s28, v0
	v_readfirstlane_b32 s29, v1
	s_and_b64 s[28:29], s[28:29], s[24:25]
	s_mul_i32 s15, s29, 24
	s_mul_hi_u32 s29, s28, 24
	s_mul_i32 s28, s28, 24
	s_add_i32 s15, s29, s15
	v_mov_b32_e32 v0, s15
	v_add_co_u32_e32 v6, vcc, s28, v22
	v_addc_co_u32_e32 v7, vcc, v23, v0, vcc
	global_store_dwordx2 v[6:7], v[12:13], off
	s_waitcnt vmcnt(0)
	global_atomic_cmpswap_x2 v[2:3], v26, v[10:13], s[6:7] offset:32 glc
	s_waitcnt vmcnt(0)
	v_cmp_ne_u64_e32 vcc, v[2:3], v[12:13]
	s_and_saveexec_b64 s[28:29], vcc
	s_cbranch_execz .LBB4_521
; %bb.519:                              ;   in Loop: Header=BB4_454 Depth=1
	s_mov_b64 s[30:31], 0
.LBB4_520:                              ;   Parent Loop BB4_454 Depth=1
                                        ; =>  This Inner Loop Header: Depth=2
	s_sleep 1
	global_store_dwordx2 v[6:7], v[2:3], off
	v_mov_b32_e32 v0, s24
	v_mov_b32_e32 v1, s25
	s_waitcnt vmcnt(0)
	global_atomic_cmpswap_x2 v[0:1], v26, v[0:3], s[6:7] offset:32 glc
	s_waitcnt vmcnt(0)
	v_cmp_eq_u64_e32 vcc, v[0:1], v[2:3]
	v_mov_b32_e32 v3, v1
	s_or_b64 s[30:31], vcc, s[30:31]
	v_mov_b32_e32 v2, v0
	s_andn2_b64 exec, exec, s[30:31]
	s_cbranch_execnz .LBB4_520
.LBB4_521:                              ;   in Loop: Header=BB4_454 Depth=1
	s_or_b64 exec, exec, s[28:29]
	global_load_dwordx2 v[0:1], v26, s[6:7] offset:16
	s_mov_b64 s[30:31], exec
	v_mbcnt_lo_u32_b32 v2, s30, 0
	v_mbcnt_hi_u32_b32 v2, s31, v2
	v_cmp_eq_u32_e32 vcc, 0, v2
	s_and_saveexec_b64 s[28:29], vcc
	s_cbranch_execz .LBB4_523
; %bb.522:                              ;   in Loop: Header=BB4_454 Depth=1
	s_bcnt1_i32_b64 s15, s[30:31]
	v_mov_b32_e32 v25, s15
	s_waitcnt vmcnt(0)
	global_atomic_add_x2 v[0:1], v[25:26], off offset:8
.LBB4_523:                              ;   in Loop: Header=BB4_454 Depth=1
	s_or_b64 exec, exec, s[28:29]
	s_waitcnt vmcnt(0)
	global_load_dwordx2 v[2:3], v[0:1], off offset:16
	s_waitcnt vmcnt(0)
	v_cmp_eq_u64_e32 vcc, 0, v[2:3]
	s_cbranch_vccnz .LBB4_525
; %bb.524:                              ;   in Loop: Header=BB4_454 Depth=1
	global_load_dword v25, v[0:1], off offset:24
	s_waitcnt vmcnt(0)
	v_and_b32_e32 v0, 0xffffff, v25
	v_readfirstlane_b32 m0, v0
	global_store_dwordx2 v[2:3], v[25:26], off
	s_sendmsg sendmsg(MSG_INTERRUPT)
.LBB4_525:                              ;   in Loop: Header=BB4_454 Depth=1
	s_or_b64 exec, exec, s[26:27]
	v_add_co_u32_e32 v0, vcc, v24, v31
	v_addc_co_u32_e32 v1, vcc, 0, v30, vcc
	s_branch .LBB4_529
.LBB4_526:                              ;   in Loop: Header=BB4_529 Depth=2
	s_or_b64 exec, exec, s[26:27]
	v_readfirstlane_b32 s15, v2
	s_cmp_eq_u32 s15, 0
	s_cbranch_scc1 .LBB4_528
; %bb.527:                              ;   in Loop: Header=BB4_529 Depth=2
	s_sleep 1
	s_cbranch_execnz .LBB4_529
	s_branch .LBB4_531
.LBB4_528:                              ;   in Loop: Header=BB4_454 Depth=1
	s_branch .LBB4_531
.LBB4_529:                              ;   Parent Loop BB4_454 Depth=1
                                        ; =>  This Inner Loop Header: Depth=2
	v_mov_b32_e32 v2, 1
	s_and_saveexec_b64 s[26:27], s[4:5]
	s_cbranch_execz .LBB4_526
; %bb.530:                              ;   in Loop: Header=BB4_529 Depth=2
	global_load_dword v2, v[27:28], off offset:20 glc
	s_waitcnt vmcnt(0)
	buffer_wbinvl1_vol
	v_and_b32_e32 v2, 1, v2
	s_branch .LBB4_526
.LBB4_531:                              ;   in Loop: Header=BB4_454 Depth=1
	global_load_dwordx4 v[0:3], v[0:1], off
	s_and_saveexec_b64 s[26:27], s[4:5]
	s_cbranch_execz .LBB4_453
; %bb.532:                              ;   in Loop: Header=BB4_454 Depth=1
	global_load_dwordx2 v[2:3], v26, s[6:7] offset:40
	global_load_dwordx2 v[6:7], v26, s[6:7] offset:24 glc
	global_load_dwordx2 v[13:14], v26, s[6:7]
	v_mov_b32_e32 v11, s25
	s_waitcnt vmcnt(2)
	v_add_co_u32_e32 v12, vcc, 1, v2
	v_addc_co_u32_e32 v15, vcc, 0, v3, vcc
	v_add_co_u32_e32 v10, vcc, s24, v12
	v_addc_co_u32_e32 v11, vcc, v15, v11, vcc
	v_cmp_eq_u64_e32 vcc, 0, v[10:11]
	v_cndmask_b32_e32 v11, v11, v15, vcc
	v_cndmask_b32_e32 v10, v10, v12, vcc
	v_and_b32_e32 v3, v11, v3
	v_and_b32_e32 v2, v10, v2
	v_mul_lo_u32 v3, v3, 24
	v_mul_hi_u32 v15, v2, 24
	v_mul_lo_u32 v2, v2, 24
	s_waitcnt vmcnt(1)
	v_mov_b32_e32 v12, v6
	v_add_u32_e32 v3, v15, v3
	s_waitcnt vmcnt(0)
	v_add_co_u32_e32 v2, vcc, v13, v2
	v_addc_co_u32_e32 v3, vcc, v14, v3, vcc
	global_store_dwordx2 v[2:3], v[6:7], off
	v_mov_b32_e32 v13, v7
	s_waitcnt vmcnt(0)
	global_atomic_cmpswap_x2 v[12:13], v26, v[10:13], s[6:7] offset:24 glc
	s_waitcnt vmcnt(0)
	v_cmp_ne_u64_e32 vcc, v[12:13], v[6:7]
	s_and_b64 exec, exec, vcc
	s_cbranch_execz .LBB4_453
; %bb.533:                              ;   in Loop: Header=BB4_454 Depth=1
	s_mov_b64 s[4:5], 0
.LBB4_534:                              ;   Parent Loop BB4_454 Depth=1
                                        ; =>  This Inner Loop Header: Depth=2
	s_sleep 1
	global_store_dwordx2 v[2:3], v[12:13], off
	s_waitcnt vmcnt(0)
	global_atomic_cmpswap_x2 v[6:7], v26, v[10:13], s[6:7] offset:24 glc
	s_waitcnt vmcnt(0)
	v_cmp_eq_u64_e32 vcc, v[6:7], v[12:13]
	v_mov_b32_e32 v13, v7
	s_or_b64 s[4:5], vcc, s[4:5]
	v_mov_b32_e32 v12, v6
	s_andn2_b64 exec, exec, s[4:5]
	s_cbranch_execnz .LBB4_534
	s_branch .LBB4_453
.LBB4_535:
	s_branch .LBB4_563
.LBB4_536:
                                        ; implicit-def: $vgpr0_vgpr1
	s_cbranch_execz .LBB4_563
; %bb.537:
	v_readfirstlane_b32 s4, v32
	v_mov_b32_e32 v7, 0
	v_mov_b32_e32 v8, 0
	v_cmp_eq_u32_e64 s[4:5], s4, v32
	s_and_saveexec_b64 s[18:19], s[4:5]
	s_cbranch_execz .LBB4_543
; %bb.538:
	s_waitcnt vmcnt(0)
	v_mov_b32_e32 v0, 0
	global_load_dwordx2 v[9:10], v0, s[6:7] offset:24 glc
	s_waitcnt vmcnt(0)
	buffer_wbinvl1_vol
	global_load_dwordx2 v[1:2], v0, s[6:7] offset:40
	global_load_dwordx2 v[6:7], v0, s[6:7]
	s_waitcnt vmcnt(1)
	v_and_b32_e32 v1, v1, v9
	v_and_b32_e32 v2, v2, v10
	v_mul_lo_u32 v2, v2, 24
	v_mul_hi_u32 v3, v1, 24
	v_mul_lo_u32 v1, v1, 24
	v_add_u32_e32 v2, v3, v2
	s_waitcnt vmcnt(0)
	v_add_co_u32_e32 v1, vcc, v6, v1
	v_addc_co_u32_e32 v2, vcc, v7, v2, vcc
	global_load_dwordx2 v[7:8], v[1:2], off glc
	s_waitcnt vmcnt(0)
	global_atomic_cmpswap_x2 v[7:8], v0, v[7:10], s[6:7] offset:24 glc
	s_waitcnt vmcnt(0)
	buffer_wbinvl1_vol
	v_cmp_ne_u64_e32 vcc, v[7:8], v[9:10]
	s_and_saveexec_b64 s[20:21], vcc
	s_cbranch_execz .LBB4_542
; %bb.539:
	s_mov_b64 s[22:23], 0
.LBB4_540:                              ; =>This Inner Loop Header: Depth=1
	s_sleep 1
	global_load_dwordx2 v[1:2], v0, s[6:7] offset:40
	global_load_dwordx2 v[11:12], v0, s[6:7]
	v_mov_b32_e32 v10, v8
	v_mov_b32_e32 v9, v7
	s_waitcnt vmcnt(1)
	v_and_b32_e32 v1, v1, v9
	s_waitcnt vmcnt(0)
	v_mad_u64_u32 v[6:7], s[24:25], v1, 24, v[11:12]
	v_and_b32_e32 v2, v2, v10
	v_mov_b32_e32 v1, v7
	v_mad_u64_u32 v[1:2], s[24:25], v2, 24, v[1:2]
	v_mov_b32_e32 v7, v1
	global_load_dwordx2 v[7:8], v[6:7], off glc
	s_waitcnt vmcnt(0)
	global_atomic_cmpswap_x2 v[7:8], v0, v[7:10], s[6:7] offset:24 glc
	s_waitcnt vmcnt(0)
	buffer_wbinvl1_vol
	v_cmp_eq_u64_e32 vcc, v[7:8], v[9:10]
	s_or_b64 s[22:23], vcc, s[22:23]
	s_andn2_b64 exec, exec, s[22:23]
	s_cbranch_execnz .LBB4_540
; %bb.541:
	s_or_b64 exec, exec, s[22:23]
.LBB4_542:
	s_or_b64 exec, exec, s[20:21]
.LBB4_543:
	s_or_b64 exec, exec, s[18:19]
	v_mov_b32_e32 v6, 0
	global_load_dwordx2 v[9:10], v6, s[6:7] offset:40
	global_load_dwordx4 v[0:3], v6, s[6:7]
	v_readfirstlane_b32 s18, v7
	v_readfirstlane_b32 s19, v8
	s_mov_b64 s[20:21], exec
	s_waitcnt vmcnt(1)
	v_readfirstlane_b32 s22, v9
	v_readfirstlane_b32 s23, v10
	s_and_b64 s[22:23], s[18:19], s[22:23]
	s_mul_i32 s15, s23, 24
	s_mul_hi_u32 s24, s22, 24
	s_mul_i32 s25, s22, 24
	s_add_i32 s15, s24, s15
	v_mov_b32_e32 v7, s15
	s_waitcnt vmcnt(0)
	v_add_co_u32_e32 v8, vcc, s25, v0
	v_addc_co_u32_e32 v9, vcc, v1, v7, vcc
	s_and_saveexec_b64 s[24:25], s[4:5]
	s_cbranch_execz .LBB4_545
; %bb.544:
	v_mov_b32_e32 v10, s20
	v_mov_b32_e32 v11, s21
	;; [unrolled: 1-line block ×4, first 2 shown]
	global_store_dwordx4 v[8:9], v[10:13], off offset:8
.LBB4_545:
	s_or_b64 exec, exec, s[24:25]
	s_lshl_b64 s[20:21], s[22:23], 12
	v_mov_b32_e32 v7, s21
	v_add_co_u32_e32 v2, vcc, s20, v2
	v_addc_co_u32_e32 v3, vcc, v3, v7, vcc
	s_movk_i32 s15, 0xff1f
	v_and_or_b32 v4, v4, s15, 32
	v_add_co_u32_e32 v10, vcc, v2, v31
	s_mov_b32 s20, 0
	v_mov_b32_e32 v7, v6
	v_readfirstlane_b32 s24, v2
	v_readfirstlane_b32 s25, v3
	v_addc_co_u32_e32 v11, vcc, 0, v3, vcc
	s_mov_b32 s21, s20
	s_mov_b32 s22, s20
	;; [unrolled: 1-line block ×3, first 2 shown]
	s_nop 0
	global_store_dwordx4 v31, v[4:7], s[24:25]
	v_mov_b32_e32 v2, s20
	v_mov_b32_e32 v3, s21
	;; [unrolled: 1-line block ×4, first 2 shown]
	global_store_dwordx4 v31, v[2:5], s[24:25] offset:16
	global_store_dwordx4 v31, v[2:5], s[24:25] offset:32
	global_store_dwordx4 v31, v[2:5], s[24:25] offset:48
	s_and_saveexec_b64 s[20:21], s[4:5]
	s_cbranch_execz .LBB4_553
; %bb.546:
	v_mov_b32_e32 v6, 0
	global_load_dwordx2 v[14:15], v6, s[6:7] offset:32 glc
	global_load_dwordx2 v[2:3], v6, s[6:7] offset:40
	v_mov_b32_e32 v12, s18
	v_mov_b32_e32 v13, s19
	s_waitcnt vmcnt(0)
	v_readfirstlane_b32 s22, v2
	v_readfirstlane_b32 s23, v3
	s_and_b64 s[22:23], s[22:23], s[18:19]
	s_mul_i32 s15, s23, 24
	s_mul_hi_u32 s23, s22, 24
	s_mul_i32 s22, s22, 24
	s_add_i32 s15, s23, s15
	v_mov_b32_e32 v2, s15
	v_add_co_u32_e32 v4, vcc, s22, v0
	v_addc_co_u32_e32 v5, vcc, v1, v2, vcc
	global_store_dwordx2 v[4:5], v[14:15], off
	s_waitcnt vmcnt(0)
	global_atomic_cmpswap_x2 v[2:3], v6, v[12:15], s[6:7] offset:32 glc
	s_waitcnt vmcnt(0)
	v_cmp_ne_u64_e32 vcc, v[2:3], v[14:15]
	s_and_saveexec_b64 s[22:23], vcc
	s_cbranch_execz .LBB4_549
; %bb.547:
	s_mov_b64 s[24:25], 0
.LBB4_548:                              ; =>This Inner Loop Header: Depth=1
	s_sleep 1
	global_store_dwordx2 v[4:5], v[2:3], off
	v_mov_b32_e32 v0, s18
	v_mov_b32_e32 v1, s19
	s_waitcnt vmcnt(0)
	global_atomic_cmpswap_x2 v[0:1], v6, v[0:3], s[6:7] offset:32 glc
	s_waitcnt vmcnt(0)
	v_cmp_eq_u64_e32 vcc, v[0:1], v[2:3]
	v_mov_b32_e32 v3, v1
	s_or_b64 s[24:25], vcc, s[24:25]
	v_mov_b32_e32 v2, v0
	s_andn2_b64 exec, exec, s[24:25]
	s_cbranch_execnz .LBB4_548
.LBB4_549:
	s_or_b64 exec, exec, s[22:23]
	v_mov_b32_e32 v3, 0
	global_load_dwordx2 v[0:1], v3, s[6:7] offset:16
	s_mov_b64 s[22:23], exec
	v_mbcnt_lo_u32_b32 v2, s22, 0
	v_mbcnt_hi_u32_b32 v2, s23, v2
	v_cmp_eq_u32_e32 vcc, 0, v2
	s_and_saveexec_b64 s[24:25], vcc
	s_cbranch_execz .LBB4_551
; %bb.550:
	s_bcnt1_i32_b64 s15, s[22:23]
	v_mov_b32_e32 v2, s15
	s_waitcnt vmcnt(0)
	global_atomic_add_x2 v[0:1], v[2:3], off offset:8
.LBB4_551:
	s_or_b64 exec, exec, s[24:25]
	s_waitcnt vmcnt(0)
	global_load_dwordx2 v[2:3], v[0:1], off offset:16
	s_waitcnt vmcnt(0)
	v_cmp_eq_u64_e32 vcc, 0, v[2:3]
	s_cbranch_vccnz .LBB4_553
; %bb.552:
	global_load_dword v0, v[0:1], off offset:24
	v_mov_b32_e32 v1, 0
	s_waitcnt vmcnt(0)
	global_store_dwordx2 v[2:3], v[0:1], off
	v_and_b32_e32 v0, 0xffffff, v0
	v_readfirstlane_b32 m0, v0
	s_sendmsg sendmsg(MSG_INTERRUPT)
.LBB4_553:
	s_or_b64 exec, exec, s[20:21]
	s_branch .LBB4_557
.LBB4_554:                              ;   in Loop: Header=BB4_557 Depth=1
	s_or_b64 exec, exec, s[20:21]
	v_readfirstlane_b32 s15, v0
	s_cmp_eq_u32 s15, 0
	s_cbranch_scc1 .LBB4_556
; %bb.555:                              ;   in Loop: Header=BB4_557 Depth=1
	s_sleep 1
	s_cbranch_execnz .LBB4_557
	s_branch .LBB4_559
.LBB4_556:
	s_branch .LBB4_559
.LBB4_557:                              ; =>This Inner Loop Header: Depth=1
	v_mov_b32_e32 v0, 1
	s_and_saveexec_b64 s[20:21], s[4:5]
	s_cbranch_execz .LBB4_554
; %bb.558:                              ;   in Loop: Header=BB4_557 Depth=1
	global_load_dword v0, v[8:9], off offset:20 glc
	s_waitcnt vmcnt(0)
	buffer_wbinvl1_vol
	v_and_b32_e32 v0, 1, v0
	s_branch .LBB4_554
.LBB4_559:
	global_load_dwordx2 v[0:1], v[10:11], off
	s_and_saveexec_b64 s[20:21], s[4:5]
	s_cbranch_execz .LBB4_562
; %bb.560:
	v_mov_b32_e32 v8, 0
	global_load_dwordx2 v[4:5], v8, s[6:7] offset:40
	global_load_dwordx2 v[9:10], v8, s[6:7] offset:24 glc
	global_load_dwordx2 v[6:7], v8, s[6:7]
	v_mov_b32_e32 v3, s19
	s_mov_b64 s[4:5], 0
	s_waitcnt vmcnt(2)
	v_add_co_u32_e32 v11, vcc, 1, v4
	v_addc_co_u32_e32 v12, vcc, 0, v5, vcc
	v_add_co_u32_e32 v2, vcc, s18, v11
	v_addc_co_u32_e32 v3, vcc, v12, v3, vcc
	v_cmp_eq_u64_e32 vcc, 0, v[2:3]
	v_cndmask_b32_e32 v3, v3, v12, vcc
	v_cndmask_b32_e32 v2, v2, v11, vcc
	v_and_b32_e32 v5, v3, v5
	v_and_b32_e32 v4, v2, v4
	v_mul_lo_u32 v5, v5, 24
	v_mul_hi_u32 v11, v4, 24
	v_mul_lo_u32 v12, v4, 24
	s_waitcnt vmcnt(1)
	v_mov_b32_e32 v4, v9
	v_add_u32_e32 v5, v11, v5
	s_waitcnt vmcnt(0)
	v_add_co_u32_e32 v6, vcc, v6, v12
	v_addc_co_u32_e32 v7, vcc, v7, v5, vcc
	global_store_dwordx2 v[6:7], v[9:10], off
	v_mov_b32_e32 v5, v10
	s_waitcnt vmcnt(0)
	global_atomic_cmpswap_x2 v[4:5], v8, v[2:5], s[6:7] offset:24 glc
	s_waitcnt vmcnt(0)
	v_cmp_ne_u64_e32 vcc, v[4:5], v[9:10]
	s_and_b64 exec, exec, vcc
	s_cbranch_execz .LBB4_562
.LBB4_561:                              ; =>This Inner Loop Header: Depth=1
	s_sleep 1
	global_store_dwordx2 v[6:7], v[4:5], off
	s_waitcnt vmcnt(0)
	global_atomic_cmpswap_x2 v[9:10], v8, v[2:5], s[6:7] offset:24 glc
	s_waitcnt vmcnt(0)
	v_cmp_eq_u64_e32 vcc, v[9:10], v[4:5]
	v_mov_b32_e32 v4, v9
	s_or_b64 s[4:5], vcc, s[4:5]
	v_mov_b32_e32 v5, v10
	s_andn2_b64 exec, exec, s[4:5]
	s_cbranch_execnz .LBB4_561
.LBB4_562:
	s_or_b64 exec, exec, s[20:21]
.LBB4_563:
	s_getpc_b64 s[18:19]
	s_add_u32 s18, s18, .str.1@rel32@lo+4
	s_addc_u32 s19, s19, .str.1@rel32@hi+12
	s_cmp_lg_u64 s[18:19], 0
	s_cbranch_scc0 .LBB4_648
; %bb.564:
	s_waitcnt vmcnt(0)
	v_and_b32_e32 v6, -3, v0
	v_mov_b32_e32 v7, v1
	s_mov_b64 s[20:21], 0x53
	v_mov_b32_e32 v26, 0
	v_mov_b32_e32 v4, 2
	;; [unrolled: 1-line block ×3, first 2 shown]
	s_branch .LBB4_566
.LBB4_565:                              ;   in Loop: Header=BB4_566 Depth=1
	s_or_b64 exec, exec, s[26:27]
	s_sub_u32 s20, s20, s22
	s_subb_u32 s21, s21, s23
	s_add_u32 s18, s18, s22
	s_addc_u32 s19, s19, s23
	s_cmp_lg_u64 s[20:21], 0
	s_cbranch_scc0 .LBB4_647
.LBB4_566:                              ; =>This Loop Header: Depth=1
                                        ;     Child Loop BB4_569 Depth 2
                                        ;     Child Loop BB4_576 Depth 2
	;; [unrolled: 1-line block ×11, first 2 shown]
	v_cmp_lt_u64_e64 s[4:5], s[20:21], 56
	v_cmp_gt_u64_e64 s[24:25], s[20:21], 7
	s_and_b64 s[4:5], s[4:5], exec
	s_cselect_b32 s23, s21, 0
	s_cselect_b32 s22, s20, 56
	s_and_b64 vcc, exec, s[24:25]
	s_cbranch_vccnz .LBB4_571
; %bb.567:                              ;   in Loop: Header=BB4_566 Depth=1
	s_waitcnt vmcnt(0)
	v_mov_b32_e32 v8, 0
	s_cmp_eq_u64 s[20:21], 0
	v_mov_b32_e32 v9, 0
	s_mov_b64 s[4:5], 0
	s_cbranch_scc1 .LBB4_570
; %bb.568:                              ;   in Loop: Header=BB4_566 Depth=1
	v_mov_b32_e32 v8, 0
	s_lshl_b64 s[24:25], s[22:23], 3
	s_mov_b64 s[26:27], 0
	v_mov_b32_e32 v9, 0
	s_mov_b64 s[28:29], s[18:19]
.LBB4_569:                              ;   Parent Loop BB4_566 Depth=1
                                        ; =>  This Inner Loop Header: Depth=2
	global_load_ubyte v2, v26, s[28:29]
	s_waitcnt vmcnt(0)
	v_and_b32_e32 v25, 0xffff, v2
	v_lshlrev_b64 v[2:3], s26, v[25:26]
	s_add_u32 s26, s26, 8
	s_addc_u32 s27, s27, 0
	s_add_u32 s28, s28, 1
	s_addc_u32 s29, s29, 0
	v_or_b32_e32 v8, v2, v8
	s_cmp_lg_u32 s24, s26
	v_or_b32_e32 v9, v3, v9
	s_cbranch_scc1 .LBB4_569
.LBB4_570:                              ;   in Loop: Header=BB4_566 Depth=1
	s_mov_b32 s15, 0
	s_andn2_b64 vcc, exec, s[4:5]
	s_mov_b64 s[4:5], s[18:19]
	s_cbranch_vccz .LBB4_572
	s_branch .LBB4_573
.LBB4_571:                              ;   in Loop: Header=BB4_566 Depth=1
                                        ; implicit-def: $sgpr15
	s_mov_b64 s[4:5], s[18:19]
.LBB4_572:                              ;   in Loop: Header=BB4_566 Depth=1
	global_load_dwordx2 v[8:9], v26, s[18:19]
	s_add_i32 s15, s22, -8
	s_add_u32 s4, s18, 8
	s_addc_u32 s5, s19, 0
.LBB4_573:                              ;   in Loop: Header=BB4_566 Depth=1
	s_cmp_gt_u32 s15, 7
	s_cbranch_scc1 .LBB4_577
; %bb.574:                              ;   in Loop: Header=BB4_566 Depth=1
	s_cmp_eq_u32 s15, 0
	s_cbranch_scc1 .LBB4_578
; %bb.575:                              ;   in Loop: Header=BB4_566 Depth=1
	v_mov_b32_e32 v10, 0
	s_mov_b64 s[24:25], 0
	v_mov_b32_e32 v11, 0
	s_mov_b64 s[26:27], 0
.LBB4_576:                              ;   Parent Loop BB4_566 Depth=1
                                        ; =>  This Inner Loop Header: Depth=2
	s_add_u32 s28, s4, s26
	s_addc_u32 s29, s5, s27
	global_load_ubyte v2, v26, s[28:29]
	s_add_u32 s26, s26, 1
	s_addc_u32 s27, s27, 0
	s_waitcnt vmcnt(0)
	v_and_b32_e32 v25, 0xffff, v2
	v_lshlrev_b64 v[2:3], s24, v[25:26]
	s_add_u32 s24, s24, 8
	s_addc_u32 s25, s25, 0
	v_or_b32_e32 v10, v2, v10
	s_cmp_lg_u32 s15, s26
	v_or_b32_e32 v11, v3, v11
	s_cbranch_scc1 .LBB4_576
	s_branch .LBB4_579
.LBB4_577:                              ;   in Loop: Header=BB4_566 Depth=1
                                        ; implicit-def: $vgpr10_vgpr11
                                        ; implicit-def: $sgpr28
	s_branch .LBB4_580
.LBB4_578:                              ;   in Loop: Header=BB4_566 Depth=1
	v_mov_b32_e32 v10, 0
	v_mov_b32_e32 v11, 0
.LBB4_579:                              ;   in Loop: Header=BB4_566 Depth=1
	s_mov_b32 s28, 0
	s_cbranch_execnz .LBB4_581
.LBB4_580:                              ;   in Loop: Header=BB4_566 Depth=1
	global_load_dwordx2 v[10:11], v26, s[4:5]
	s_add_i32 s28, s15, -8
	s_add_u32 s4, s4, 8
	s_addc_u32 s5, s5, 0
.LBB4_581:                              ;   in Loop: Header=BB4_566 Depth=1
	s_cmp_gt_u32 s28, 7
	s_cbranch_scc1 .LBB4_585
; %bb.582:                              ;   in Loop: Header=BB4_566 Depth=1
	s_cmp_eq_u32 s28, 0
	s_cbranch_scc1 .LBB4_586
; %bb.583:                              ;   in Loop: Header=BB4_566 Depth=1
	v_mov_b32_e32 v12, 0
	s_mov_b64 s[24:25], 0
	v_mov_b32_e32 v13, 0
	s_mov_b64 s[26:27], 0
.LBB4_584:                              ;   Parent Loop BB4_566 Depth=1
                                        ; =>  This Inner Loop Header: Depth=2
	s_add_u32 vcc_lo, s4, s26
	s_addc_u32 vcc_hi, s5, s27
	global_load_ubyte v2, v26, vcc
	s_add_u32 s26, s26, 1
	s_addc_u32 s27, s27, 0
	s_waitcnt vmcnt(0)
	v_and_b32_e32 v25, 0xffff, v2
	v_lshlrev_b64 v[2:3], s24, v[25:26]
	s_add_u32 s24, s24, 8
	s_addc_u32 s25, s25, 0
	v_or_b32_e32 v12, v2, v12
	s_cmp_lg_u32 s28, s26
	v_or_b32_e32 v13, v3, v13
	s_cbranch_scc1 .LBB4_584
	s_branch .LBB4_587
.LBB4_585:                              ;   in Loop: Header=BB4_566 Depth=1
                                        ; implicit-def: $sgpr15
	s_branch .LBB4_588
.LBB4_586:                              ;   in Loop: Header=BB4_566 Depth=1
	v_mov_b32_e32 v12, 0
	v_mov_b32_e32 v13, 0
.LBB4_587:                              ;   in Loop: Header=BB4_566 Depth=1
	s_mov_b32 s15, 0
	s_cbranch_execnz .LBB4_589
.LBB4_588:                              ;   in Loop: Header=BB4_566 Depth=1
	global_load_dwordx2 v[12:13], v26, s[4:5]
	s_add_i32 s15, s28, -8
	s_add_u32 s4, s4, 8
	s_addc_u32 s5, s5, 0
.LBB4_589:                              ;   in Loop: Header=BB4_566 Depth=1
	s_cmp_gt_u32 s15, 7
	s_cbranch_scc1 .LBB4_593
; %bb.590:                              ;   in Loop: Header=BB4_566 Depth=1
	s_cmp_eq_u32 s15, 0
	s_cbranch_scc1 .LBB4_594
; %bb.591:                              ;   in Loop: Header=BB4_566 Depth=1
	v_mov_b32_e32 v14, 0
	s_mov_b64 s[24:25], 0
	v_mov_b32_e32 v15, 0
	s_mov_b64 s[26:27], 0
.LBB4_592:                              ;   Parent Loop BB4_566 Depth=1
                                        ; =>  This Inner Loop Header: Depth=2
	s_add_u32 s28, s4, s26
	s_addc_u32 s29, s5, s27
	global_load_ubyte v2, v26, s[28:29]
	s_add_u32 s26, s26, 1
	s_addc_u32 s27, s27, 0
	s_waitcnt vmcnt(0)
	v_and_b32_e32 v25, 0xffff, v2
	v_lshlrev_b64 v[2:3], s24, v[25:26]
	s_add_u32 s24, s24, 8
	s_addc_u32 s25, s25, 0
	v_or_b32_e32 v14, v2, v14
	s_cmp_lg_u32 s15, s26
	v_or_b32_e32 v15, v3, v15
	s_cbranch_scc1 .LBB4_592
	s_branch .LBB4_595
.LBB4_593:                              ;   in Loop: Header=BB4_566 Depth=1
                                        ; implicit-def: $vgpr14_vgpr15
                                        ; implicit-def: $sgpr28
	s_branch .LBB4_596
.LBB4_594:                              ;   in Loop: Header=BB4_566 Depth=1
	v_mov_b32_e32 v14, 0
	v_mov_b32_e32 v15, 0
.LBB4_595:                              ;   in Loop: Header=BB4_566 Depth=1
	s_mov_b32 s28, 0
	s_cbranch_execnz .LBB4_597
.LBB4_596:                              ;   in Loop: Header=BB4_566 Depth=1
	global_load_dwordx2 v[14:15], v26, s[4:5]
	s_add_i32 s28, s15, -8
	s_add_u32 s4, s4, 8
	s_addc_u32 s5, s5, 0
.LBB4_597:                              ;   in Loop: Header=BB4_566 Depth=1
	s_cmp_gt_u32 s28, 7
	s_cbranch_scc1 .LBB4_601
; %bb.598:                              ;   in Loop: Header=BB4_566 Depth=1
	s_cmp_eq_u32 s28, 0
	s_cbranch_scc1 .LBB4_602
; %bb.599:                              ;   in Loop: Header=BB4_566 Depth=1
	v_mov_b32_e32 v16, 0
	s_mov_b64 s[24:25], 0
	v_mov_b32_e32 v17, 0
	s_mov_b64 s[26:27], 0
.LBB4_600:                              ;   Parent Loop BB4_566 Depth=1
                                        ; =>  This Inner Loop Header: Depth=2
	s_add_u32 vcc_lo, s4, s26
	s_addc_u32 vcc_hi, s5, s27
	global_load_ubyte v2, v26, vcc
	s_add_u32 s26, s26, 1
	s_addc_u32 s27, s27, 0
	s_waitcnt vmcnt(0)
	v_and_b32_e32 v25, 0xffff, v2
	v_lshlrev_b64 v[2:3], s24, v[25:26]
	s_add_u32 s24, s24, 8
	s_addc_u32 s25, s25, 0
	v_or_b32_e32 v16, v2, v16
	s_cmp_lg_u32 s28, s26
	v_or_b32_e32 v17, v3, v17
	s_cbranch_scc1 .LBB4_600
	s_branch .LBB4_603
.LBB4_601:                              ;   in Loop: Header=BB4_566 Depth=1
                                        ; implicit-def: $sgpr15
	s_branch .LBB4_604
.LBB4_602:                              ;   in Loop: Header=BB4_566 Depth=1
	v_mov_b32_e32 v16, 0
	v_mov_b32_e32 v17, 0
.LBB4_603:                              ;   in Loop: Header=BB4_566 Depth=1
	s_mov_b32 s15, 0
	s_cbranch_execnz .LBB4_605
.LBB4_604:                              ;   in Loop: Header=BB4_566 Depth=1
	global_load_dwordx2 v[16:17], v26, s[4:5]
	s_add_i32 s15, s28, -8
	s_add_u32 s4, s4, 8
	s_addc_u32 s5, s5, 0
.LBB4_605:                              ;   in Loop: Header=BB4_566 Depth=1
	s_cmp_gt_u32 s15, 7
	s_cbranch_scc1 .LBB4_609
; %bb.606:                              ;   in Loop: Header=BB4_566 Depth=1
	s_cmp_eq_u32 s15, 0
	s_cbranch_scc1 .LBB4_610
; %bb.607:                              ;   in Loop: Header=BB4_566 Depth=1
	v_mov_b32_e32 v18, 0
	s_mov_b64 s[24:25], 0
	v_mov_b32_e32 v19, 0
	s_mov_b64 s[26:27], 0
.LBB4_608:                              ;   Parent Loop BB4_566 Depth=1
                                        ; =>  This Inner Loop Header: Depth=2
	s_add_u32 s28, s4, s26
	s_addc_u32 s29, s5, s27
	global_load_ubyte v2, v26, s[28:29]
	s_add_u32 s26, s26, 1
	s_addc_u32 s27, s27, 0
	s_waitcnt vmcnt(0)
	v_and_b32_e32 v25, 0xffff, v2
	v_lshlrev_b64 v[2:3], s24, v[25:26]
	s_add_u32 s24, s24, 8
	s_addc_u32 s25, s25, 0
	v_or_b32_e32 v18, v2, v18
	s_cmp_lg_u32 s15, s26
	v_or_b32_e32 v19, v3, v19
	s_cbranch_scc1 .LBB4_608
	s_branch .LBB4_611
.LBB4_609:                              ;   in Loop: Header=BB4_566 Depth=1
                                        ; implicit-def: $vgpr18_vgpr19
                                        ; implicit-def: $sgpr28
	s_branch .LBB4_612
.LBB4_610:                              ;   in Loop: Header=BB4_566 Depth=1
	v_mov_b32_e32 v18, 0
	v_mov_b32_e32 v19, 0
.LBB4_611:                              ;   in Loop: Header=BB4_566 Depth=1
	s_mov_b32 s28, 0
	s_cbranch_execnz .LBB4_613
.LBB4_612:                              ;   in Loop: Header=BB4_566 Depth=1
	global_load_dwordx2 v[18:19], v26, s[4:5]
	s_add_i32 s28, s15, -8
	s_add_u32 s4, s4, 8
	s_addc_u32 s5, s5, 0
.LBB4_613:                              ;   in Loop: Header=BB4_566 Depth=1
	s_cmp_gt_u32 s28, 7
	s_cbranch_scc1 .LBB4_617
; %bb.614:                              ;   in Loop: Header=BB4_566 Depth=1
	s_cmp_eq_u32 s28, 0
	s_cbranch_scc1 .LBB4_618
; %bb.615:                              ;   in Loop: Header=BB4_566 Depth=1
	v_mov_b32_e32 v20, 0
	s_mov_b64 s[24:25], 0
	v_mov_b32_e32 v21, 0
	s_mov_b64 s[26:27], s[4:5]
.LBB4_616:                              ;   Parent Loop BB4_566 Depth=1
                                        ; =>  This Inner Loop Header: Depth=2
	global_load_ubyte v2, v26, s[26:27]
	s_add_i32 s28, s28, -1
	s_waitcnt vmcnt(0)
	v_and_b32_e32 v25, 0xffff, v2
	v_lshlrev_b64 v[2:3], s24, v[25:26]
	s_add_u32 s24, s24, 8
	s_addc_u32 s25, s25, 0
	s_add_u32 s26, s26, 1
	s_addc_u32 s27, s27, 0
	v_or_b32_e32 v20, v2, v20
	s_cmp_lg_u32 s28, 0
	v_or_b32_e32 v21, v3, v21
	s_cbranch_scc1 .LBB4_616
	s_branch .LBB4_619
.LBB4_617:                              ;   in Loop: Header=BB4_566 Depth=1
	s_branch .LBB4_620
.LBB4_618:                              ;   in Loop: Header=BB4_566 Depth=1
	v_mov_b32_e32 v20, 0
	v_mov_b32_e32 v21, 0
.LBB4_619:                              ;   in Loop: Header=BB4_566 Depth=1
	s_cbranch_execnz .LBB4_621
.LBB4_620:                              ;   in Loop: Header=BB4_566 Depth=1
	global_load_dwordx2 v[20:21], v26, s[4:5]
.LBB4_621:                              ;   in Loop: Header=BB4_566 Depth=1
	v_readfirstlane_b32 s4, v32
	v_mov_b32_e32 v2, 0
	v_mov_b32_e32 v3, 0
	v_cmp_eq_u32_e64 s[4:5], s4, v32
	s_and_saveexec_b64 s[24:25], s[4:5]
	s_cbranch_execz .LBB4_627
; %bb.622:                              ;   in Loop: Header=BB4_566 Depth=1
	global_load_dwordx2 v[24:25], v26, s[6:7] offset:24 glc
	s_waitcnt vmcnt(0)
	buffer_wbinvl1_vol
	global_load_dwordx2 v[2:3], v26, s[6:7] offset:40
	global_load_dwordx2 v[22:23], v26, s[6:7]
	s_waitcnt vmcnt(1)
	v_and_b32_e32 v2, v2, v24
	v_and_b32_e32 v3, v3, v25
	v_mul_lo_u32 v3, v3, 24
	v_mul_hi_u32 v27, v2, 24
	v_mul_lo_u32 v2, v2, 24
	v_add_u32_e32 v3, v27, v3
	s_waitcnt vmcnt(0)
	v_add_co_u32_e32 v2, vcc, v22, v2
	v_addc_co_u32_e32 v3, vcc, v23, v3, vcc
	global_load_dwordx2 v[22:23], v[2:3], off glc
	s_waitcnt vmcnt(0)
	global_atomic_cmpswap_x2 v[2:3], v26, v[22:25], s[6:7] offset:24 glc
	s_waitcnt vmcnt(0)
	buffer_wbinvl1_vol
	v_cmp_ne_u64_e32 vcc, v[2:3], v[24:25]
	s_and_saveexec_b64 s[26:27], vcc
	s_cbranch_execz .LBB4_626
; %bb.623:                              ;   in Loop: Header=BB4_566 Depth=1
	s_mov_b64 s[28:29], 0
.LBB4_624:                              ;   Parent Loop BB4_566 Depth=1
                                        ; =>  This Inner Loop Header: Depth=2
	s_sleep 1
	global_load_dwordx2 v[22:23], v26, s[6:7] offset:40
	global_load_dwordx2 v[27:28], v26, s[6:7]
	v_mov_b32_e32 v25, v3
	v_mov_b32_e32 v24, v2
	s_waitcnt vmcnt(1)
	v_and_b32_e32 v2, v22, v24
	s_waitcnt vmcnt(0)
	v_mad_u64_u32 v[2:3], vcc, v2, 24, v[27:28]
	v_and_b32_e32 v22, v23, v25
	v_mad_u64_u32 v[22:23], vcc, v22, 24, v[3:4]
	v_mov_b32_e32 v3, v22
	global_load_dwordx2 v[22:23], v[2:3], off glc
	s_waitcnt vmcnt(0)
	global_atomic_cmpswap_x2 v[2:3], v26, v[22:25], s[6:7] offset:24 glc
	s_waitcnt vmcnt(0)
	buffer_wbinvl1_vol
	v_cmp_eq_u64_e32 vcc, v[2:3], v[24:25]
	s_or_b64 s[28:29], vcc, s[28:29]
	s_andn2_b64 exec, exec, s[28:29]
	s_cbranch_execnz .LBB4_624
; %bb.625:                              ;   in Loop: Header=BB4_566 Depth=1
	s_or_b64 exec, exec, s[28:29]
.LBB4_626:                              ;   in Loop: Header=BB4_566 Depth=1
	s_or_b64 exec, exec, s[26:27]
.LBB4_627:                              ;   in Loop: Header=BB4_566 Depth=1
	s_or_b64 exec, exec, s[24:25]
	global_load_dwordx2 v[27:28], v26, s[6:7] offset:40
	global_load_dwordx4 v[22:25], v26, s[6:7]
	v_readfirstlane_b32 s24, v2
	v_readfirstlane_b32 s25, v3
	s_mov_b64 s[26:27], exec
	s_waitcnt vmcnt(1)
	v_readfirstlane_b32 s28, v27
	v_readfirstlane_b32 s29, v28
	s_and_b64 s[28:29], s[24:25], s[28:29]
	s_mul_i32 s15, s29, 24
	s_mul_hi_u32 vcc_lo, s28, 24
	s_mul_i32 vcc_hi, s28, 24
	s_add_i32 s15, vcc_lo, s15
	v_mov_b32_e32 v2, s15
	s_waitcnt vmcnt(0)
	v_add_co_u32_e32 v27, vcc, vcc_hi, v22
	v_addc_co_u32_e32 v28, vcc, v23, v2, vcc
	s_and_saveexec_b64 vcc, s[4:5]
	s_cbranch_execz .LBB4_629
; %bb.628:                              ;   in Loop: Header=BB4_566 Depth=1
	v_mov_b32_e32 v2, s26
	v_mov_b32_e32 v3, s27
	global_store_dwordx4 v[27:28], v[2:5], off offset:8
.LBB4_629:                              ;   in Loop: Header=BB4_566 Depth=1
	s_or_b64 exec, exec, vcc
	s_lshl_b64 s[26:27], s[28:29], 12
	v_mov_b32_e32 v2, s27
	v_add_co_u32_e32 v24, vcc, s26, v24
	v_addc_co_u32_e32 v29, vcc, v25, v2, vcc
	v_cmp_gt_u64_e64 vcc, s[20:21], 56
	v_or_b32_e32 v2, 2, v6
	s_lshl_b32 s15, s22, 2
	v_cndmask_b32_e32 v2, v2, v6, vcc
	s_add_i32 s15, s15, 28
	s_and_b32 s15, s15, 0x1e0
	v_and_b32_e32 v2, 0xffffff1f, v2
	v_or_b32_e32 v6, s15, v2
	v_readfirstlane_b32 s26, v24
	v_readfirstlane_b32 s27, v29
	s_nop 4
	global_store_dwordx4 v31, v[6:9], s[26:27]
	global_store_dwordx4 v31, v[10:13], s[26:27] offset:16
	global_store_dwordx4 v31, v[14:17], s[26:27] offset:32
	global_store_dwordx4 v31, v[18:21], s[26:27] offset:48
	s_and_saveexec_b64 s[26:27], s[4:5]
	s_cbranch_execz .LBB4_637
; %bb.630:                              ;   in Loop: Header=BB4_566 Depth=1
	global_load_dwordx2 v[10:11], v26, s[6:7] offset:32 glc
	global_load_dwordx2 v[2:3], v26, s[6:7] offset:40
	v_mov_b32_e32 v8, s24
	v_mov_b32_e32 v9, s25
	s_waitcnt vmcnt(0)
	v_readfirstlane_b32 s28, v2
	v_readfirstlane_b32 s29, v3
	s_and_b64 s[28:29], s[28:29], s[24:25]
	s_mul_i32 s15, s29, 24
	s_mul_hi_u32 s29, s28, 24
	s_mul_i32 s28, s28, 24
	s_add_i32 s15, s29, s15
	v_mov_b32_e32 v3, s15
	v_add_co_u32_e32 v2, vcc, s28, v22
	v_addc_co_u32_e32 v3, vcc, v23, v3, vcc
	global_store_dwordx2 v[2:3], v[10:11], off
	s_waitcnt vmcnt(0)
	global_atomic_cmpswap_x2 v[8:9], v26, v[8:11], s[6:7] offset:32 glc
	s_waitcnt vmcnt(0)
	v_cmp_ne_u64_e32 vcc, v[8:9], v[10:11]
	s_and_saveexec_b64 s[28:29], vcc
	s_cbranch_execz .LBB4_633
; %bb.631:                              ;   in Loop: Header=BB4_566 Depth=1
	s_mov_b64 s[30:31], 0
.LBB4_632:                              ;   Parent Loop BB4_566 Depth=1
                                        ; =>  This Inner Loop Header: Depth=2
	s_sleep 1
	global_store_dwordx2 v[2:3], v[8:9], off
	v_mov_b32_e32 v6, s24
	v_mov_b32_e32 v7, s25
	s_waitcnt vmcnt(0)
	global_atomic_cmpswap_x2 v[6:7], v26, v[6:9], s[6:7] offset:32 glc
	s_waitcnt vmcnt(0)
	v_cmp_eq_u64_e32 vcc, v[6:7], v[8:9]
	v_mov_b32_e32 v9, v7
	s_or_b64 s[30:31], vcc, s[30:31]
	v_mov_b32_e32 v8, v6
	s_andn2_b64 exec, exec, s[30:31]
	s_cbranch_execnz .LBB4_632
.LBB4_633:                              ;   in Loop: Header=BB4_566 Depth=1
	s_or_b64 exec, exec, s[28:29]
	global_load_dwordx2 v[2:3], v26, s[6:7] offset:16
	s_mov_b64 s[30:31], exec
	v_mbcnt_lo_u32_b32 v6, s30, 0
	v_mbcnt_hi_u32_b32 v6, s31, v6
	v_cmp_eq_u32_e32 vcc, 0, v6
	s_and_saveexec_b64 s[28:29], vcc
	s_cbranch_execz .LBB4_635
; %bb.634:                              ;   in Loop: Header=BB4_566 Depth=1
	s_bcnt1_i32_b64 s15, s[30:31]
	v_mov_b32_e32 v25, s15
	s_waitcnt vmcnt(0)
	global_atomic_add_x2 v[2:3], v[25:26], off offset:8
.LBB4_635:                              ;   in Loop: Header=BB4_566 Depth=1
	s_or_b64 exec, exec, s[28:29]
	s_waitcnt vmcnt(0)
	global_load_dwordx2 v[6:7], v[2:3], off offset:16
	s_waitcnt vmcnt(0)
	v_cmp_eq_u64_e32 vcc, 0, v[6:7]
	s_cbranch_vccnz .LBB4_637
; %bb.636:                              ;   in Loop: Header=BB4_566 Depth=1
	global_load_dword v25, v[2:3], off offset:24
	s_waitcnt vmcnt(0)
	v_and_b32_e32 v2, 0xffffff, v25
	v_readfirstlane_b32 m0, v2
	global_store_dwordx2 v[6:7], v[25:26], off
	s_sendmsg sendmsg(MSG_INTERRUPT)
.LBB4_637:                              ;   in Loop: Header=BB4_566 Depth=1
	s_or_b64 exec, exec, s[26:27]
	v_add_co_u32_e32 v2, vcc, v24, v31
	v_addc_co_u32_e32 v3, vcc, 0, v29, vcc
	s_branch .LBB4_641
.LBB4_638:                              ;   in Loop: Header=BB4_641 Depth=2
	s_or_b64 exec, exec, s[26:27]
	v_readfirstlane_b32 s15, v6
	s_cmp_eq_u32 s15, 0
	s_cbranch_scc1 .LBB4_640
; %bb.639:                              ;   in Loop: Header=BB4_641 Depth=2
	s_sleep 1
	s_cbranch_execnz .LBB4_641
	s_branch .LBB4_643
.LBB4_640:                              ;   in Loop: Header=BB4_566 Depth=1
	s_branch .LBB4_643
.LBB4_641:                              ;   Parent Loop BB4_566 Depth=1
                                        ; =>  This Inner Loop Header: Depth=2
	v_mov_b32_e32 v6, 1
	s_and_saveexec_b64 s[26:27], s[4:5]
	s_cbranch_execz .LBB4_638
; %bb.642:                              ;   in Loop: Header=BB4_641 Depth=2
	global_load_dword v6, v[27:28], off offset:20 glc
	s_waitcnt vmcnt(0)
	buffer_wbinvl1_vol
	v_and_b32_e32 v6, 1, v6
	s_branch .LBB4_638
.LBB4_643:                              ;   in Loop: Header=BB4_566 Depth=1
	global_load_dwordx4 v[6:9], v[2:3], off
	s_and_saveexec_b64 s[26:27], s[4:5]
	s_cbranch_execz .LBB4_565
; %bb.644:                              ;   in Loop: Header=BB4_566 Depth=1
	global_load_dwordx2 v[2:3], v26, s[6:7] offset:40
	global_load_dwordx2 v[12:13], v26, s[6:7] offset:24 glc
	global_load_dwordx2 v[14:15], v26, s[6:7]
	s_waitcnt vmcnt(3)
	v_mov_b32_e32 v9, s25
	s_waitcnt vmcnt(2)
	v_add_co_u32_e32 v10, vcc, 1, v2
	v_addc_co_u32_e32 v11, vcc, 0, v3, vcc
	v_add_co_u32_e32 v8, vcc, s24, v10
	v_addc_co_u32_e32 v9, vcc, v11, v9, vcc
	v_cmp_eq_u64_e32 vcc, 0, v[8:9]
	v_cndmask_b32_e32 v9, v9, v11, vcc
	v_cndmask_b32_e32 v8, v8, v10, vcc
	v_and_b32_e32 v3, v9, v3
	v_and_b32_e32 v2, v8, v2
	v_mul_lo_u32 v3, v3, 24
	v_mul_hi_u32 v11, v2, 24
	v_mul_lo_u32 v2, v2, 24
	s_waitcnt vmcnt(1)
	v_mov_b32_e32 v10, v12
	v_add_u32_e32 v3, v11, v3
	s_waitcnt vmcnt(0)
	v_add_co_u32_e32 v2, vcc, v14, v2
	v_addc_co_u32_e32 v3, vcc, v15, v3, vcc
	global_store_dwordx2 v[2:3], v[12:13], off
	v_mov_b32_e32 v11, v13
	s_waitcnt vmcnt(0)
	global_atomic_cmpswap_x2 v[10:11], v26, v[8:11], s[6:7] offset:24 glc
	s_waitcnt vmcnt(0)
	v_cmp_ne_u64_e32 vcc, v[10:11], v[12:13]
	s_and_b64 exec, exec, vcc
	s_cbranch_execz .LBB4_565
; %bb.645:                              ;   in Loop: Header=BB4_566 Depth=1
	s_mov_b64 s[4:5], 0
.LBB4_646:                              ;   Parent Loop BB4_566 Depth=1
                                        ; =>  This Inner Loop Header: Depth=2
	s_sleep 1
	global_store_dwordx2 v[2:3], v[10:11], off
	s_waitcnt vmcnt(0)
	global_atomic_cmpswap_x2 v[12:13], v26, v[8:11], s[6:7] offset:24 glc
	s_waitcnt vmcnt(0)
	v_cmp_eq_u64_e32 vcc, v[12:13], v[10:11]
	v_mov_b32_e32 v10, v12
	s_or_b64 s[4:5], vcc, s[4:5]
	v_mov_b32_e32 v11, v13
	s_andn2_b64 exec, exec, s[4:5]
	s_cbranch_execnz .LBB4_646
	s_branch .LBB4_565
.LBB4_647:
	s_branch .LBB4_675
.LBB4_648:
	s_cbranch_execz .LBB4_675
; %bb.649:
	v_readfirstlane_b32 s4, v32
	s_waitcnt vmcnt(0)
	v_mov_b32_e32 v8, 0
	v_mov_b32_e32 v9, 0
	v_cmp_eq_u32_e64 s[4:5], s4, v32
	s_and_saveexec_b64 s[18:19], s[4:5]
	s_cbranch_execz .LBB4_655
; %bb.650:
	v_mov_b32_e32 v2, 0
	global_load_dwordx2 v[5:6], v2, s[6:7] offset:24 glc
	s_waitcnt vmcnt(0)
	buffer_wbinvl1_vol
	global_load_dwordx2 v[3:4], v2, s[6:7] offset:40
	global_load_dwordx2 v[7:8], v2, s[6:7]
	s_waitcnt vmcnt(1)
	v_and_b32_e32 v3, v3, v5
	v_and_b32_e32 v4, v4, v6
	v_mul_lo_u32 v4, v4, 24
	v_mul_hi_u32 v9, v3, 24
	v_mul_lo_u32 v3, v3, 24
	v_add_u32_e32 v4, v9, v4
	s_waitcnt vmcnt(0)
	v_add_co_u32_e32 v3, vcc, v7, v3
	v_addc_co_u32_e32 v4, vcc, v8, v4, vcc
	global_load_dwordx2 v[3:4], v[3:4], off glc
	s_waitcnt vmcnt(0)
	global_atomic_cmpswap_x2 v[8:9], v2, v[3:6], s[6:7] offset:24 glc
	s_waitcnt vmcnt(0)
	buffer_wbinvl1_vol
	v_cmp_ne_u64_e32 vcc, v[8:9], v[5:6]
	s_and_saveexec_b64 s[20:21], vcc
	s_cbranch_execz .LBB4_654
; %bb.651:
	s_mov_b64 s[22:23], 0
.LBB4_652:                              ; =>This Inner Loop Header: Depth=1
	s_sleep 1
	global_load_dwordx2 v[3:4], v2, s[6:7] offset:40
	global_load_dwordx2 v[10:11], v2, s[6:7]
	v_mov_b32_e32 v5, v8
	v_mov_b32_e32 v6, v9
	s_waitcnt vmcnt(1)
	v_and_b32_e32 v3, v3, v5
	s_waitcnt vmcnt(0)
	v_mad_u64_u32 v[7:8], s[24:25], v3, 24, v[10:11]
	v_and_b32_e32 v4, v4, v6
	v_mov_b32_e32 v3, v8
	v_mad_u64_u32 v[3:4], s[24:25], v4, 24, v[3:4]
	v_mov_b32_e32 v8, v3
	global_load_dwordx2 v[3:4], v[7:8], off glc
	s_waitcnt vmcnt(0)
	global_atomic_cmpswap_x2 v[8:9], v2, v[3:6], s[6:7] offset:24 glc
	s_waitcnt vmcnt(0)
	buffer_wbinvl1_vol
	v_cmp_eq_u64_e32 vcc, v[8:9], v[5:6]
	s_or_b64 s[22:23], vcc, s[22:23]
	s_andn2_b64 exec, exec, s[22:23]
	s_cbranch_execnz .LBB4_652
; %bb.653:
	s_or_b64 exec, exec, s[22:23]
.LBB4_654:
	s_or_b64 exec, exec, s[20:21]
.LBB4_655:
	s_or_b64 exec, exec, s[18:19]
	v_mov_b32_e32 v2, 0
	global_load_dwordx2 v[10:11], v2, s[6:7] offset:40
	global_load_dwordx4 v[4:7], v2, s[6:7]
	v_readfirstlane_b32 s18, v8
	v_readfirstlane_b32 s19, v9
	s_mov_b64 s[20:21], exec
	s_waitcnt vmcnt(1)
	v_readfirstlane_b32 s22, v10
	v_readfirstlane_b32 s23, v11
	s_and_b64 s[22:23], s[18:19], s[22:23]
	s_mul_i32 s15, s23, 24
	s_mul_hi_u32 s24, s22, 24
	s_mul_i32 s25, s22, 24
	s_add_i32 s15, s24, s15
	v_mov_b32_e32 v3, s15
	s_waitcnt vmcnt(0)
	v_add_co_u32_e32 v8, vcc, s25, v4
	v_addc_co_u32_e32 v9, vcc, v5, v3, vcc
	s_and_saveexec_b64 s[24:25], s[4:5]
	s_cbranch_execz .LBB4_657
; %bb.656:
	v_mov_b32_e32 v10, s20
	v_mov_b32_e32 v11, s21
	v_mov_b32_e32 v12, 2
	v_mov_b32_e32 v13, 1
	global_store_dwordx4 v[8:9], v[10:13], off offset:8
.LBB4_657:
	s_or_b64 exec, exec, s[24:25]
	s_lshl_b64 s[20:21], s[22:23], 12
	v_mov_b32_e32 v3, s21
	v_add_co_u32_e32 v6, vcc, s20, v6
	v_addc_co_u32_e32 v7, vcc, v7, v3, vcc
	s_movk_i32 s15, 0xff1d
	v_and_or_b32 v0, v0, s15, 34
	s_mov_b32 s20, 0
	v_mov_b32_e32 v3, v2
	v_readfirstlane_b32 s24, v6
	v_readfirstlane_b32 s25, v7
	s_mov_b32 s21, s20
	s_mov_b32 s22, s20
	;; [unrolled: 1-line block ×3, first 2 shown]
	s_nop 1
	global_store_dwordx4 v31, v[0:3], s[24:25]
	s_nop 0
	v_mov_b32_e32 v0, s20
	v_mov_b32_e32 v1, s21
	v_mov_b32_e32 v2, s22
	v_mov_b32_e32 v3, s23
	global_store_dwordx4 v31, v[0:3], s[24:25] offset:16
	global_store_dwordx4 v31, v[0:3], s[24:25] offset:32
	global_store_dwordx4 v31, v[0:3], s[24:25] offset:48
	s_and_saveexec_b64 s[20:21], s[4:5]
	s_cbranch_execz .LBB4_665
; %bb.658:
	v_mov_b32_e32 v6, 0
	global_load_dwordx2 v[12:13], v6, s[6:7] offset:32 glc
	global_load_dwordx2 v[0:1], v6, s[6:7] offset:40
	v_mov_b32_e32 v10, s18
	v_mov_b32_e32 v11, s19
	s_waitcnt vmcnt(0)
	v_readfirstlane_b32 s22, v0
	v_readfirstlane_b32 s23, v1
	s_and_b64 s[22:23], s[22:23], s[18:19]
	s_mul_i32 s15, s23, 24
	s_mul_hi_u32 s23, s22, 24
	s_mul_i32 s22, s22, 24
	s_add_i32 s15, s23, s15
	v_mov_b32_e32 v0, s15
	v_add_co_u32_e32 v4, vcc, s22, v4
	v_addc_co_u32_e32 v5, vcc, v5, v0, vcc
	global_store_dwordx2 v[4:5], v[12:13], off
	s_waitcnt vmcnt(0)
	global_atomic_cmpswap_x2 v[2:3], v6, v[10:13], s[6:7] offset:32 glc
	s_waitcnt vmcnt(0)
	v_cmp_ne_u64_e32 vcc, v[2:3], v[12:13]
	s_and_saveexec_b64 s[22:23], vcc
	s_cbranch_execz .LBB4_661
; %bb.659:
	s_mov_b64 s[24:25], 0
.LBB4_660:                              ; =>This Inner Loop Header: Depth=1
	s_sleep 1
	global_store_dwordx2 v[4:5], v[2:3], off
	v_mov_b32_e32 v0, s18
	v_mov_b32_e32 v1, s19
	s_waitcnt vmcnt(0)
	global_atomic_cmpswap_x2 v[0:1], v6, v[0:3], s[6:7] offset:32 glc
	s_waitcnt vmcnt(0)
	v_cmp_eq_u64_e32 vcc, v[0:1], v[2:3]
	v_mov_b32_e32 v3, v1
	s_or_b64 s[24:25], vcc, s[24:25]
	v_mov_b32_e32 v2, v0
	s_andn2_b64 exec, exec, s[24:25]
	s_cbranch_execnz .LBB4_660
.LBB4_661:
	s_or_b64 exec, exec, s[22:23]
	v_mov_b32_e32 v3, 0
	global_load_dwordx2 v[0:1], v3, s[6:7] offset:16
	s_mov_b64 s[22:23], exec
	v_mbcnt_lo_u32_b32 v2, s22, 0
	v_mbcnt_hi_u32_b32 v2, s23, v2
	v_cmp_eq_u32_e32 vcc, 0, v2
	s_and_saveexec_b64 s[24:25], vcc
	s_cbranch_execz .LBB4_663
; %bb.662:
	s_bcnt1_i32_b64 s15, s[22:23]
	v_mov_b32_e32 v2, s15
	s_waitcnt vmcnt(0)
	global_atomic_add_x2 v[0:1], v[2:3], off offset:8
.LBB4_663:
	s_or_b64 exec, exec, s[24:25]
	s_waitcnt vmcnt(0)
	global_load_dwordx2 v[2:3], v[0:1], off offset:16
	s_waitcnt vmcnt(0)
	v_cmp_eq_u64_e32 vcc, 0, v[2:3]
	s_cbranch_vccnz .LBB4_665
; %bb.664:
	global_load_dword v0, v[0:1], off offset:24
	v_mov_b32_e32 v1, 0
	s_waitcnt vmcnt(0)
	global_store_dwordx2 v[2:3], v[0:1], off
	v_and_b32_e32 v0, 0xffffff, v0
	v_readfirstlane_b32 m0, v0
	s_sendmsg sendmsg(MSG_INTERRUPT)
.LBB4_665:
	s_or_b64 exec, exec, s[20:21]
	s_branch .LBB4_669
.LBB4_666:                              ;   in Loop: Header=BB4_669 Depth=1
	s_or_b64 exec, exec, s[20:21]
	v_readfirstlane_b32 s15, v0
	s_cmp_eq_u32 s15, 0
	s_cbranch_scc1 .LBB4_668
; %bb.667:                              ;   in Loop: Header=BB4_669 Depth=1
	s_sleep 1
	s_cbranch_execnz .LBB4_669
	s_branch .LBB4_671
.LBB4_668:
	s_branch .LBB4_671
.LBB4_669:                              ; =>This Inner Loop Header: Depth=1
	v_mov_b32_e32 v0, 1
	s_and_saveexec_b64 s[20:21], s[4:5]
	s_cbranch_execz .LBB4_666
; %bb.670:                              ;   in Loop: Header=BB4_669 Depth=1
	global_load_dword v0, v[8:9], off offset:20 glc
	s_waitcnt vmcnt(0)
	buffer_wbinvl1_vol
	v_and_b32_e32 v0, 1, v0
	s_branch .LBB4_666
.LBB4_671:
	s_and_saveexec_b64 s[20:21], s[4:5]
	s_cbranch_execz .LBB4_674
; %bb.672:
	v_mov_b32_e32 v6, 0
	global_load_dwordx2 v[2:3], v6, s[6:7] offset:40
	global_load_dwordx2 v[7:8], v6, s[6:7] offset:24 glc
	global_load_dwordx2 v[4:5], v6, s[6:7]
	v_mov_b32_e32 v1, s19
	s_mov_b64 s[4:5], 0
	s_waitcnt vmcnt(2)
	v_add_co_u32_e32 v9, vcc, 1, v2
	v_addc_co_u32_e32 v10, vcc, 0, v3, vcc
	v_add_co_u32_e32 v0, vcc, s18, v9
	v_addc_co_u32_e32 v1, vcc, v10, v1, vcc
	v_cmp_eq_u64_e32 vcc, 0, v[0:1]
	v_cndmask_b32_e32 v1, v1, v10, vcc
	v_cndmask_b32_e32 v0, v0, v9, vcc
	v_and_b32_e32 v3, v1, v3
	v_and_b32_e32 v2, v0, v2
	v_mul_lo_u32 v3, v3, 24
	v_mul_hi_u32 v9, v2, 24
	v_mul_lo_u32 v10, v2, 24
	s_waitcnt vmcnt(1)
	v_mov_b32_e32 v2, v7
	v_add_u32_e32 v3, v9, v3
	s_waitcnt vmcnt(0)
	v_add_co_u32_e32 v4, vcc, v4, v10
	v_addc_co_u32_e32 v5, vcc, v5, v3, vcc
	global_store_dwordx2 v[4:5], v[7:8], off
	v_mov_b32_e32 v3, v8
	s_waitcnt vmcnt(0)
	global_atomic_cmpswap_x2 v[2:3], v6, v[0:3], s[6:7] offset:24 glc
	s_waitcnt vmcnt(0)
	v_cmp_ne_u64_e32 vcc, v[2:3], v[7:8]
	s_and_b64 exec, exec, vcc
	s_cbranch_execz .LBB4_674
.LBB4_673:                              ; =>This Inner Loop Header: Depth=1
	s_sleep 1
	global_store_dwordx2 v[4:5], v[2:3], off
	s_waitcnt vmcnt(0)
	global_atomic_cmpswap_x2 v[7:8], v6, v[0:3], s[6:7] offset:24 glc
	s_waitcnt vmcnt(0)
	v_cmp_eq_u64_e32 vcc, v[7:8], v[2:3]
	v_mov_b32_e32 v2, v7
	s_or_b64 s[4:5], vcc, s[4:5]
	v_mov_b32_e32 v3, v8
	s_andn2_b64 exec, exec, s[4:5]
	s_cbranch_execnz .LBB4_673
.LBB4_674:
	s_or_b64 exec, exec, s[20:21]
.LBB4_675:
	v_readfirstlane_b32 s4, v32
	s_waitcnt vmcnt(0)
	v_mov_b32_e32 v5, 0
	v_mov_b32_e32 v6, 0
	v_cmp_eq_u32_e64 s[4:5], s4, v32
	s_and_saveexec_b64 s[18:19], s[4:5]
	s_cbranch_execz .LBB4_681
; %bb.676:
	v_mov_b32_e32 v0, 0
	global_load_dwordx2 v[3:4], v0, s[6:7] offset:24 glc
	s_waitcnt vmcnt(0)
	buffer_wbinvl1_vol
	global_load_dwordx2 v[1:2], v0, s[6:7] offset:40
	global_load_dwordx2 v[5:6], v0, s[6:7]
	s_waitcnt vmcnt(1)
	v_and_b32_e32 v1, v1, v3
	v_and_b32_e32 v2, v2, v4
	v_mul_lo_u32 v2, v2, 24
	v_mul_hi_u32 v7, v1, 24
	v_mul_lo_u32 v1, v1, 24
	v_add_u32_e32 v2, v7, v2
	s_waitcnt vmcnt(0)
	v_add_co_u32_e32 v1, vcc, v5, v1
	v_addc_co_u32_e32 v2, vcc, v6, v2, vcc
	global_load_dwordx2 v[1:2], v[1:2], off glc
	s_waitcnt vmcnt(0)
	global_atomic_cmpswap_x2 v[5:6], v0, v[1:4], s[6:7] offset:24 glc
	s_waitcnt vmcnt(0)
	buffer_wbinvl1_vol
	v_cmp_ne_u64_e32 vcc, v[5:6], v[3:4]
	s_and_saveexec_b64 s[20:21], vcc
	s_cbranch_execz .LBB4_680
; %bb.677:
	s_mov_b64 s[22:23], 0
.LBB4_678:                              ; =>This Inner Loop Header: Depth=1
	s_sleep 1
	global_load_dwordx2 v[1:2], v0, s[6:7] offset:40
	global_load_dwordx2 v[7:8], v0, s[6:7]
	v_mov_b32_e32 v3, v5
	v_mov_b32_e32 v4, v6
	s_waitcnt vmcnt(1)
	v_and_b32_e32 v1, v1, v3
	s_waitcnt vmcnt(0)
	v_mad_u64_u32 v[5:6], s[24:25], v1, 24, v[7:8]
	v_and_b32_e32 v2, v2, v4
	v_mov_b32_e32 v1, v6
	v_mad_u64_u32 v[1:2], s[24:25], v2, 24, v[1:2]
	v_mov_b32_e32 v6, v1
	global_load_dwordx2 v[1:2], v[5:6], off glc
	s_waitcnt vmcnt(0)
	global_atomic_cmpswap_x2 v[5:6], v0, v[1:4], s[6:7] offset:24 glc
	s_waitcnt vmcnt(0)
	buffer_wbinvl1_vol
	v_cmp_eq_u64_e32 vcc, v[5:6], v[3:4]
	s_or_b64 s[22:23], vcc, s[22:23]
	s_andn2_b64 exec, exec, s[22:23]
	s_cbranch_execnz .LBB4_678
; %bb.679:
	s_or_b64 exec, exec, s[22:23]
.LBB4_680:
	s_or_b64 exec, exec, s[20:21]
.LBB4_681:
	s_or_b64 exec, exec, s[18:19]
	v_mov_b32_e32 v4, 0
	global_load_dwordx2 v[7:8], v4, s[6:7] offset:40
	global_load_dwordx4 v[0:3], v4, s[6:7]
	v_readfirstlane_b32 s18, v5
	v_readfirstlane_b32 s19, v6
	s_mov_b64 s[20:21], exec
	s_waitcnt vmcnt(1)
	v_readfirstlane_b32 s22, v7
	v_readfirstlane_b32 s23, v8
	s_and_b64 s[22:23], s[18:19], s[22:23]
	s_mul_i32 s15, s23, 24
	s_mul_hi_u32 s24, s22, 24
	s_mul_i32 s25, s22, 24
	s_add_i32 s15, s24, s15
	v_mov_b32_e32 v5, s15
	s_waitcnt vmcnt(0)
	v_add_co_u32_e32 v7, vcc, s25, v0
	v_addc_co_u32_e32 v8, vcc, v1, v5, vcc
	s_and_saveexec_b64 s[24:25], s[4:5]
	s_cbranch_execz .LBB4_683
; %bb.682:
	v_mov_b32_e32 v9, s20
	v_mov_b32_e32 v10, s21
	;; [unrolled: 1-line block ×4, first 2 shown]
	global_store_dwordx4 v[7:8], v[9:12], off offset:8
.LBB4_683:
	s_or_b64 exec, exec, s[24:25]
	s_lshl_b64 s[20:21], s[22:23], 12
	v_mov_b32_e32 v5, s21
	v_add_co_u32_e32 v2, vcc, s20, v2
	v_addc_co_u32_e32 v11, vcc, v3, v5, vcc
	s_mov_b32 s20, 0
	v_mov_b32_e32 v3, 33
	v_mov_b32_e32 v5, v4
	;; [unrolled: 1-line block ×3, first 2 shown]
	v_readfirstlane_b32 s24, v2
	v_readfirstlane_b32 s25, v11
	v_add_co_u32_e32 v9, vcc, v2, v31
	s_mov_b32 s21, s20
	s_mov_b32 s22, s20
	;; [unrolled: 1-line block ×3, first 2 shown]
	s_nop 0
	global_store_dwordx4 v31, v[3:6], s[24:25]
	v_mov_b32_e32 v2, s20
	v_addc_co_u32_e32 v10, vcc, 0, v11, vcc
	v_mov_b32_e32 v3, s21
	v_mov_b32_e32 v4, s22
	;; [unrolled: 1-line block ×3, first 2 shown]
	global_store_dwordx4 v31, v[2:5], s[24:25] offset:16
	global_store_dwordx4 v31, v[2:5], s[24:25] offset:32
	;; [unrolled: 1-line block ×3, first 2 shown]
	s_and_saveexec_b64 s[20:21], s[4:5]
	s_cbranch_execz .LBB4_691
; %bb.684:
	v_mov_b32_e32 v6, 0
	global_load_dwordx2 v[13:14], v6, s[6:7] offset:32 glc
	global_load_dwordx2 v[2:3], v6, s[6:7] offset:40
	v_mov_b32_e32 v11, s18
	v_mov_b32_e32 v12, s19
	s_waitcnt vmcnt(0)
	v_readfirstlane_b32 s22, v2
	v_readfirstlane_b32 s23, v3
	s_and_b64 s[22:23], s[22:23], s[18:19]
	s_mul_i32 s15, s23, 24
	s_mul_hi_u32 s23, s22, 24
	s_mul_i32 s22, s22, 24
	s_add_i32 s15, s23, s15
	v_mov_b32_e32 v2, s15
	v_add_co_u32_e32 v4, vcc, s22, v0
	v_addc_co_u32_e32 v5, vcc, v1, v2, vcc
	global_store_dwordx2 v[4:5], v[13:14], off
	s_waitcnt vmcnt(0)
	global_atomic_cmpswap_x2 v[2:3], v6, v[11:14], s[6:7] offset:32 glc
	s_waitcnt vmcnt(0)
	v_cmp_ne_u64_e32 vcc, v[2:3], v[13:14]
	s_and_saveexec_b64 s[22:23], vcc
	s_cbranch_execz .LBB4_687
; %bb.685:
	s_mov_b64 s[24:25], 0
.LBB4_686:                              ; =>This Inner Loop Header: Depth=1
	s_sleep 1
	global_store_dwordx2 v[4:5], v[2:3], off
	v_mov_b32_e32 v0, s18
	v_mov_b32_e32 v1, s19
	s_waitcnt vmcnt(0)
	global_atomic_cmpswap_x2 v[0:1], v6, v[0:3], s[6:7] offset:32 glc
	s_waitcnt vmcnt(0)
	v_cmp_eq_u64_e32 vcc, v[0:1], v[2:3]
	v_mov_b32_e32 v3, v1
	s_or_b64 s[24:25], vcc, s[24:25]
	v_mov_b32_e32 v2, v0
	s_andn2_b64 exec, exec, s[24:25]
	s_cbranch_execnz .LBB4_686
.LBB4_687:
	s_or_b64 exec, exec, s[22:23]
	v_mov_b32_e32 v3, 0
	global_load_dwordx2 v[0:1], v3, s[6:7] offset:16
	s_mov_b64 s[22:23], exec
	v_mbcnt_lo_u32_b32 v2, s22, 0
	v_mbcnt_hi_u32_b32 v2, s23, v2
	v_cmp_eq_u32_e32 vcc, 0, v2
	s_and_saveexec_b64 s[24:25], vcc
	s_cbranch_execz .LBB4_689
; %bb.688:
	s_bcnt1_i32_b64 s15, s[22:23]
	v_mov_b32_e32 v2, s15
	s_waitcnt vmcnt(0)
	global_atomic_add_x2 v[0:1], v[2:3], off offset:8
.LBB4_689:
	s_or_b64 exec, exec, s[24:25]
	s_waitcnt vmcnt(0)
	global_load_dwordx2 v[2:3], v[0:1], off offset:16
	s_waitcnt vmcnt(0)
	v_cmp_eq_u64_e32 vcc, 0, v[2:3]
	s_cbranch_vccnz .LBB4_691
; %bb.690:
	global_load_dword v0, v[0:1], off offset:24
	v_mov_b32_e32 v1, 0
	s_waitcnt vmcnt(0)
	global_store_dwordx2 v[2:3], v[0:1], off
	v_and_b32_e32 v0, 0xffffff, v0
	v_readfirstlane_b32 m0, v0
	s_sendmsg sendmsg(MSG_INTERRUPT)
.LBB4_691:
	s_or_b64 exec, exec, s[20:21]
	s_branch .LBB4_695
.LBB4_692:                              ;   in Loop: Header=BB4_695 Depth=1
	s_or_b64 exec, exec, s[20:21]
	v_readfirstlane_b32 s15, v0
	s_cmp_eq_u32 s15, 0
	s_cbranch_scc1 .LBB4_694
; %bb.693:                              ;   in Loop: Header=BB4_695 Depth=1
	s_sleep 1
	s_cbranch_execnz .LBB4_695
	s_branch .LBB4_697
.LBB4_694:
	s_branch .LBB4_697
.LBB4_695:                              ; =>This Inner Loop Header: Depth=1
	v_mov_b32_e32 v0, 1
	s_and_saveexec_b64 s[20:21], s[4:5]
	s_cbranch_execz .LBB4_692
; %bb.696:                              ;   in Loop: Header=BB4_695 Depth=1
	global_load_dword v0, v[7:8], off offset:20 glc
	s_waitcnt vmcnt(0)
	buffer_wbinvl1_vol
	v_and_b32_e32 v0, 1, v0
	s_branch .LBB4_692
.LBB4_697:
	global_load_dwordx2 v[0:1], v[9:10], off
	s_and_saveexec_b64 s[20:21], s[4:5]
	s_cbranch_execz .LBB4_700
; %bb.698:
	v_mov_b32_e32 v8, 0
	global_load_dwordx2 v[4:5], v8, s[6:7] offset:40
	global_load_dwordx2 v[9:10], v8, s[6:7] offset:24 glc
	global_load_dwordx2 v[6:7], v8, s[6:7]
	v_mov_b32_e32 v3, s19
	s_mov_b64 s[4:5], 0
	s_waitcnt vmcnt(2)
	v_add_co_u32_e32 v11, vcc, 1, v4
	v_addc_co_u32_e32 v12, vcc, 0, v5, vcc
	v_add_co_u32_e32 v2, vcc, s18, v11
	v_addc_co_u32_e32 v3, vcc, v12, v3, vcc
	v_cmp_eq_u64_e32 vcc, 0, v[2:3]
	v_cndmask_b32_e32 v3, v3, v12, vcc
	v_cndmask_b32_e32 v2, v2, v11, vcc
	v_and_b32_e32 v5, v3, v5
	v_and_b32_e32 v4, v2, v4
	v_mul_lo_u32 v5, v5, 24
	v_mul_hi_u32 v11, v4, 24
	v_mul_lo_u32 v12, v4, 24
	s_waitcnt vmcnt(1)
	v_mov_b32_e32 v4, v9
	v_add_u32_e32 v5, v11, v5
	s_waitcnt vmcnt(0)
	v_add_co_u32_e32 v6, vcc, v6, v12
	v_addc_co_u32_e32 v7, vcc, v7, v5, vcc
	global_store_dwordx2 v[6:7], v[9:10], off
	v_mov_b32_e32 v5, v10
	s_waitcnt vmcnt(0)
	global_atomic_cmpswap_x2 v[4:5], v8, v[2:5], s[6:7] offset:24 glc
	s_waitcnt vmcnt(0)
	v_cmp_ne_u64_e32 vcc, v[4:5], v[9:10]
	s_and_b64 exec, exec, vcc
	s_cbranch_execz .LBB4_700
.LBB4_699:                              ; =>This Inner Loop Header: Depth=1
	s_sleep 1
	global_store_dwordx2 v[6:7], v[4:5], off
	s_waitcnt vmcnt(0)
	global_atomic_cmpswap_x2 v[9:10], v8, v[2:5], s[6:7] offset:24 glc
	s_waitcnt vmcnt(0)
	v_cmp_eq_u64_e32 vcc, v[9:10], v[4:5]
	v_mov_b32_e32 v4, v9
	s_or_b64 s[4:5], vcc, s[4:5]
	v_mov_b32_e32 v5, v10
	s_andn2_b64 exec, exec, s[4:5]
	s_cbranch_execnz .LBB4_699
.LBB4_700:
	s_or_b64 exec, exec, s[20:21]
	s_and_b64 vcc, exec, s[16:17]
	s_cbranch_vccz .LBB4_785
; %bb.701:
	s_waitcnt vmcnt(0)
	v_and_b32_e32 v33, 2, v0
	v_mov_b32_e32 v28, 0
	v_and_b32_e32 v2, -3, v0
	v_mov_b32_e32 v3, v1
	s_mov_b64 s[20:21], 3
	v_mov_b32_e32 v6, 2
	v_mov_b32_e32 v7, 1
	s_getpc_b64 s[18:19]
	s_add_u32 s18, s18, .str.6@rel32@lo+4
	s_addc_u32 s19, s19, .str.6@rel32@hi+12
	s_branch .LBB4_703
.LBB4_702:                              ;   in Loop: Header=BB4_703 Depth=1
	s_or_b64 exec, exec, s[26:27]
	s_sub_u32 s20, s20, s22
	s_subb_u32 s21, s21, s23
	s_add_u32 s18, s18, s22
	s_addc_u32 s19, s19, s23
	s_cmp_lg_u64 s[20:21], 0
	s_cbranch_scc0 .LBB4_784
.LBB4_703:                              ; =>This Loop Header: Depth=1
                                        ;     Child Loop BB4_706 Depth 2
                                        ;     Child Loop BB4_713 Depth 2
	;; [unrolled: 1-line block ×11, first 2 shown]
	v_cmp_lt_u64_e64 s[4:5], s[20:21], 56
	v_cmp_gt_u64_e64 s[24:25], s[20:21], 7
	s_and_b64 s[4:5], s[4:5], exec
	s_cselect_b32 s23, s21, 0
	s_cselect_b32 s22, s20, 56
	s_and_b64 vcc, exec, s[24:25]
	s_cbranch_vccnz .LBB4_708
; %bb.704:                              ;   in Loop: Header=BB4_703 Depth=1
	v_mov_b32_e32 v10, 0
	s_cmp_eq_u64 s[20:21], 0
	v_mov_b32_e32 v11, 0
	s_mov_b64 s[4:5], 0
	s_cbranch_scc1 .LBB4_707
; %bb.705:                              ;   in Loop: Header=BB4_703 Depth=1
	v_mov_b32_e32 v10, 0
	s_lshl_b64 s[24:25], s[22:23], 3
	s_mov_b64 s[26:27], 0
	v_mov_b32_e32 v11, 0
	s_mov_b64 s[28:29], s[18:19]
.LBB4_706:                              ;   Parent Loop BB4_703 Depth=1
                                        ; =>  This Inner Loop Header: Depth=2
	global_load_ubyte v4, v28, s[28:29]
	s_waitcnt vmcnt(0)
	v_and_b32_e32 v27, 0xffff, v4
	v_lshlrev_b64 v[4:5], s26, v[27:28]
	s_add_u32 s26, s26, 8
	s_addc_u32 s27, s27, 0
	s_add_u32 s28, s28, 1
	s_addc_u32 s29, s29, 0
	v_or_b32_e32 v10, v4, v10
	s_cmp_lg_u32 s24, s26
	v_or_b32_e32 v11, v5, v11
	s_cbranch_scc1 .LBB4_706
.LBB4_707:                              ;   in Loop: Header=BB4_703 Depth=1
	s_mov_b32 s15, 0
	s_andn2_b64 vcc, exec, s[4:5]
	s_mov_b64 s[4:5], s[18:19]
	s_cbranch_vccz .LBB4_709
	s_branch .LBB4_710
.LBB4_708:                              ;   in Loop: Header=BB4_703 Depth=1
                                        ; implicit-def: $vgpr10_vgpr11
                                        ; implicit-def: $sgpr15
	s_mov_b64 s[4:5], s[18:19]
.LBB4_709:                              ;   in Loop: Header=BB4_703 Depth=1
	global_load_dwordx2 v[10:11], v28, s[18:19]
	s_add_i32 s15, s22, -8
	s_add_u32 s4, s18, 8
	s_addc_u32 s5, s19, 0
.LBB4_710:                              ;   in Loop: Header=BB4_703 Depth=1
	s_cmp_gt_u32 s15, 7
	s_cbranch_scc1 .LBB4_714
; %bb.711:                              ;   in Loop: Header=BB4_703 Depth=1
	s_cmp_eq_u32 s15, 0
	s_cbranch_scc1 .LBB4_715
; %bb.712:                              ;   in Loop: Header=BB4_703 Depth=1
	v_mov_b32_e32 v12, 0
	s_mov_b64 s[24:25], 0
	v_mov_b32_e32 v13, 0
	s_mov_b64 s[26:27], 0
.LBB4_713:                              ;   Parent Loop BB4_703 Depth=1
                                        ; =>  This Inner Loop Header: Depth=2
	s_add_u32 s28, s4, s26
	s_addc_u32 s29, s5, s27
	global_load_ubyte v4, v28, s[28:29]
	s_add_u32 s26, s26, 1
	s_addc_u32 s27, s27, 0
	s_waitcnt vmcnt(0)
	v_and_b32_e32 v27, 0xffff, v4
	v_lshlrev_b64 v[4:5], s24, v[27:28]
	s_add_u32 s24, s24, 8
	s_addc_u32 s25, s25, 0
	v_or_b32_e32 v12, v4, v12
	s_cmp_lg_u32 s15, s26
	v_or_b32_e32 v13, v5, v13
	s_cbranch_scc1 .LBB4_713
	s_branch .LBB4_716
.LBB4_714:                              ;   in Loop: Header=BB4_703 Depth=1
                                        ; implicit-def: $vgpr12_vgpr13
                                        ; implicit-def: $sgpr28
	s_branch .LBB4_717
.LBB4_715:                              ;   in Loop: Header=BB4_703 Depth=1
	v_mov_b32_e32 v12, 0
	v_mov_b32_e32 v13, 0
.LBB4_716:                              ;   in Loop: Header=BB4_703 Depth=1
	s_mov_b32 s28, 0
	s_cbranch_execnz .LBB4_718
.LBB4_717:                              ;   in Loop: Header=BB4_703 Depth=1
	global_load_dwordx2 v[12:13], v28, s[4:5]
	s_add_i32 s28, s15, -8
	s_add_u32 s4, s4, 8
	s_addc_u32 s5, s5, 0
.LBB4_718:                              ;   in Loop: Header=BB4_703 Depth=1
	s_cmp_gt_u32 s28, 7
	s_cbranch_scc1 .LBB4_722
; %bb.719:                              ;   in Loop: Header=BB4_703 Depth=1
	s_cmp_eq_u32 s28, 0
	s_cbranch_scc1 .LBB4_723
; %bb.720:                              ;   in Loop: Header=BB4_703 Depth=1
	v_mov_b32_e32 v14, 0
	s_mov_b64 s[24:25], 0
	v_mov_b32_e32 v15, 0
	s_mov_b64 s[26:27], 0
.LBB4_721:                              ;   Parent Loop BB4_703 Depth=1
                                        ; =>  This Inner Loop Header: Depth=2
	s_add_u32 vcc_lo, s4, s26
	s_addc_u32 vcc_hi, s5, s27
	global_load_ubyte v4, v28, vcc
	s_add_u32 s26, s26, 1
	s_addc_u32 s27, s27, 0
	s_waitcnt vmcnt(0)
	v_and_b32_e32 v27, 0xffff, v4
	v_lshlrev_b64 v[4:5], s24, v[27:28]
	s_add_u32 s24, s24, 8
	s_addc_u32 s25, s25, 0
	v_or_b32_e32 v14, v4, v14
	s_cmp_lg_u32 s28, s26
	v_or_b32_e32 v15, v5, v15
	s_cbranch_scc1 .LBB4_721
	s_branch .LBB4_724
.LBB4_722:                              ;   in Loop: Header=BB4_703 Depth=1
                                        ; implicit-def: $sgpr15
	s_branch .LBB4_725
.LBB4_723:                              ;   in Loop: Header=BB4_703 Depth=1
	v_mov_b32_e32 v14, 0
	v_mov_b32_e32 v15, 0
.LBB4_724:                              ;   in Loop: Header=BB4_703 Depth=1
	s_mov_b32 s15, 0
	s_cbranch_execnz .LBB4_726
.LBB4_725:                              ;   in Loop: Header=BB4_703 Depth=1
	global_load_dwordx2 v[14:15], v28, s[4:5]
	s_add_i32 s15, s28, -8
	s_add_u32 s4, s4, 8
	s_addc_u32 s5, s5, 0
.LBB4_726:                              ;   in Loop: Header=BB4_703 Depth=1
	s_cmp_gt_u32 s15, 7
	s_cbranch_scc1 .LBB4_730
; %bb.727:                              ;   in Loop: Header=BB4_703 Depth=1
	s_cmp_eq_u32 s15, 0
	s_cbranch_scc1 .LBB4_731
; %bb.728:                              ;   in Loop: Header=BB4_703 Depth=1
	v_mov_b32_e32 v16, 0
	s_mov_b64 s[24:25], 0
	v_mov_b32_e32 v17, 0
	s_mov_b64 s[26:27], 0
.LBB4_729:                              ;   Parent Loop BB4_703 Depth=1
                                        ; =>  This Inner Loop Header: Depth=2
	s_add_u32 s28, s4, s26
	s_addc_u32 s29, s5, s27
	global_load_ubyte v4, v28, s[28:29]
	s_add_u32 s26, s26, 1
	s_addc_u32 s27, s27, 0
	s_waitcnt vmcnt(0)
	v_and_b32_e32 v27, 0xffff, v4
	v_lshlrev_b64 v[4:5], s24, v[27:28]
	s_add_u32 s24, s24, 8
	s_addc_u32 s25, s25, 0
	v_or_b32_e32 v16, v4, v16
	s_cmp_lg_u32 s15, s26
	v_or_b32_e32 v17, v5, v17
	s_cbranch_scc1 .LBB4_729
	s_branch .LBB4_732
.LBB4_730:                              ;   in Loop: Header=BB4_703 Depth=1
                                        ; implicit-def: $vgpr16_vgpr17
                                        ; implicit-def: $sgpr28
	s_branch .LBB4_733
.LBB4_731:                              ;   in Loop: Header=BB4_703 Depth=1
	v_mov_b32_e32 v16, 0
	v_mov_b32_e32 v17, 0
.LBB4_732:                              ;   in Loop: Header=BB4_703 Depth=1
	s_mov_b32 s28, 0
	s_cbranch_execnz .LBB4_734
.LBB4_733:                              ;   in Loop: Header=BB4_703 Depth=1
	global_load_dwordx2 v[16:17], v28, s[4:5]
	s_add_i32 s28, s15, -8
	s_add_u32 s4, s4, 8
	s_addc_u32 s5, s5, 0
.LBB4_734:                              ;   in Loop: Header=BB4_703 Depth=1
	s_cmp_gt_u32 s28, 7
	s_cbranch_scc1 .LBB4_738
; %bb.735:                              ;   in Loop: Header=BB4_703 Depth=1
	s_cmp_eq_u32 s28, 0
	s_cbranch_scc1 .LBB4_739
; %bb.736:                              ;   in Loop: Header=BB4_703 Depth=1
	v_mov_b32_e32 v18, 0
	s_mov_b64 s[24:25], 0
	v_mov_b32_e32 v19, 0
	s_mov_b64 s[26:27], 0
.LBB4_737:                              ;   Parent Loop BB4_703 Depth=1
                                        ; =>  This Inner Loop Header: Depth=2
	s_add_u32 vcc_lo, s4, s26
	s_addc_u32 vcc_hi, s5, s27
	global_load_ubyte v4, v28, vcc
	s_add_u32 s26, s26, 1
	s_addc_u32 s27, s27, 0
	s_waitcnt vmcnt(0)
	v_and_b32_e32 v27, 0xffff, v4
	v_lshlrev_b64 v[4:5], s24, v[27:28]
	s_add_u32 s24, s24, 8
	s_addc_u32 s25, s25, 0
	v_or_b32_e32 v18, v4, v18
	s_cmp_lg_u32 s28, s26
	v_or_b32_e32 v19, v5, v19
	s_cbranch_scc1 .LBB4_737
	s_branch .LBB4_740
.LBB4_738:                              ;   in Loop: Header=BB4_703 Depth=1
                                        ; implicit-def: $sgpr15
	s_branch .LBB4_741
.LBB4_739:                              ;   in Loop: Header=BB4_703 Depth=1
	v_mov_b32_e32 v18, 0
	v_mov_b32_e32 v19, 0
.LBB4_740:                              ;   in Loop: Header=BB4_703 Depth=1
	s_mov_b32 s15, 0
	s_cbranch_execnz .LBB4_742
.LBB4_741:                              ;   in Loop: Header=BB4_703 Depth=1
	global_load_dwordx2 v[18:19], v28, s[4:5]
	s_add_i32 s15, s28, -8
	s_add_u32 s4, s4, 8
	s_addc_u32 s5, s5, 0
.LBB4_742:                              ;   in Loop: Header=BB4_703 Depth=1
	s_cmp_gt_u32 s15, 7
	s_cbranch_scc1 .LBB4_746
; %bb.743:                              ;   in Loop: Header=BB4_703 Depth=1
	s_cmp_eq_u32 s15, 0
	s_cbranch_scc1 .LBB4_747
; %bb.744:                              ;   in Loop: Header=BB4_703 Depth=1
	v_mov_b32_e32 v20, 0
	s_mov_b64 s[24:25], 0
	v_mov_b32_e32 v21, 0
	s_mov_b64 s[26:27], 0
.LBB4_745:                              ;   Parent Loop BB4_703 Depth=1
                                        ; =>  This Inner Loop Header: Depth=2
	s_add_u32 s28, s4, s26
	s_addc_u32 s29, s5, s27
	global_load_ubyte v4, v28, s[28:29]
	s_add_u32 s26, s26, 1
	s_addc_u32 s27, s27, 0
	s_waitcnt vmcnt(0)
	v_and_b32_e32 v27, 0xffff, v4
	v_lshlrev_b64 v[4:5], s24, v[27:28]
	s_add_u32 s24, s24, 8
	s_addc_u32 s25, s25, 0
	v_or_b32_e32 v20, v4, v20
	s_cmp_lg_u32 s15, s26
	v_or_b32_e32 v21, v5, v21
	s_cbranch_scc1 .LBB4_745
	s_branch .LBB4_748
.LBB4_746:                              ;   in Loop: Header=BB4_703 Depth=1
                                        ; implicit-def: $vgpr20_vgpr21
                                        ; implicit-def: $sgpr28
	s_branch .LBB4_749
.LBB4_747:                              ;   in Loop: Header=BB4_703 Depth=1
	v_mov_b32_e32 v20, 0
	v_mov_b32_e32 v21, 0
.LBB4_748:                              ;   in Loop: Header=BB4_703 Depth=1
	s_mov_b32 s28, 0
	s_cbranch_execnz .LBB4_750
.LBB4_749:                              ;   in Loop: Header=BB4_703 Depth=1
	global_load_dwordx2 v[20:21], v28, s[4:5]
	s_add_i32 s28, s15, -8
	s_add_u32 s4, s4, 8
	s_addc_u32 s5, s5, 0
.LBB4_750:                              ;   in Loop: Header=BB4_703 Depth=1
	s_cmp_gt_u32 s28, 7
	s_cbranch_scc1 .LBB4_754
; %bb.751:                              ;   in Loop: Header=BB4_703 Depth=1
	s_cmp_eq_u32 s28, 0
	s_cbranch_scc1 .LBB4_755
; %bb.752:                              ;   in Loop: Header=BB4_703 Depth=1
	v_mov_b32_e32 v22, 0
	s_mov_b64 s[24:25], 0
	v_mov_b32_e32 v23, 0
	s_mov_b64 s[26:27], s[4:5]
.LBB4_753:                              ;   Parent Loop BB4_703 Depth=1
                                        ; =>  This Inner Loop Header: Depth=2
	global_load_ubyte v4, v28, s[26:27]
	s_add_i32 s28, s28, -1
	s_waitcnt vmcnt(0)
	v_and_b32_e32 v27, 0xffff, v4
	v_lshlrev_b64 v[4:5], s24, v[27:28]
	s_add_u32 s24, s24, 8
	s_addc_u32 s25, s25, 0
	s_add_u32 s26, s26, 1
	s_addc_u32 s27, s27, 0
	v_or_b32_e32 v22, v4, v22
	s_cmp_lg_u32 s28, 0
	v_or_b32_e32 v23, v5, v23
	s_cbranch_scc1 .LBB4_753
	s_branch .LBB4_756
.LBB4_754:                              ;   in Loop: Header=BB4_703 Depth=1
	s_branch .LBB4_757
.LBB4_755:                              ;   in Loop: Header=BB4_703 Depth=1
	v_mov_b32_e32 v22, 0
	v_mov_b32_e32 v23, 0
.LBB4_756:                              ;   in Loop: Header=BB4_703 Depth=1
	s_cbranch_execnz .LBB4_758
.LBB4_757:                              ;   in Loop: Header=BB4_703 Depth=1
	global_load_dwordx2 v[22:23], v28, s[4:5]
.LBB4_758:                              ;   in Loop: Header=BB4_703 Depth=1
	v_readfirstlane_b32 s4, v32
	s_waitcnt vmcnt(0)
	v_mov_b32_e32 v4, 0
	v_mov_b32_e32 v5, 0
	v_cmp_eq_u32_e64 s[4:5], s4, v32
	s_and_saveexec_b64 s[24:25], s[4:5]
	s_cbranch_execz .LBB4_764
; %bb.759:                              ;   in Loop: Header=BB4_703 Depth=1
	global_load_dwordx2 v[26:27], v28, s[6:7] offset:24 glc
	s_waitcnt vmcnt(0)
	buffer_wbinvl1_vol
	global_load_dwordx2 v[4:5], v28, s[6:7] offset:40
	global_load_dwordx2 v[8:9], v28, s[6:7]
	s_waitcnt vmcnt(1)
	v_and_b32_e32 v4, v4, v26
	v_and_b32_e32 v5, v5, v27
	v_mul_lo_u32 v5, v5, 24
	v_mul_hi_u32 v24, v4, 24
	v_mul_lo_u32 v4, v4, 24
	v_add_u32_e32 v5, v24, v5
	s_waitcnt vmcnt(0)
	v_add_co_u32_e32 v4, vcc, v8, v4
	v_addc_co_u32_e32 v5, vcc, v9, v5, vcc
	global_load_dwordx2 v[24:25], v[4:5], off glc
	s_waitcnt vmcnt(0)
	global_atomic_cmpswap_x2 v[4:5], v28, v[24:27], s[6:7] offset:24 glc
	s_waitcnt vmcnt(0)
	buffer_wbinvl1_vol
	v_cmp_ne_u64_e32 vcc, v[4:5], v[26:27]
	s_and_saveexec_b64 s[26:27], vcc
	s_cbranch_execz .LBB4_763
; %bb.760:                              ;   in Loop: Header=BB4_703 Depth=1
	s_mov_b64 s[28:29], 0
.LBB4_761:                              ;   Parent Loop BB4_703 Depth=1
                                        ; =>  This Inner Loop Header: Depth=2
	s_sleep 1
	global_load_dwordx2 v[8:9], v28, s[6:7] offset:40
	global_load_dwordx2 v[24:25], v28, s[6:7]
	v_mov_b32_e32 v27, v5
	v_mov_b32_e32 v26, v4
	s_waitcnt vmcnt(1)
	v_and_b32_e32 v4, v8, v26
	s_waitcnt vmcnt(0)
	v_mad_u64_u32 v[4:5], vcc, v4, 24, v[24:25]
	v_and_b32_e32 v8, v9, v27
	v_mad_u64_u32 v[8:9], vcc, v8, 24, v[5:6]
	v_mov_b32_e32 v5, v8
	global_load_dwordx2 v[24:25], v[4:5], off glc
	s_waitcnt vmcnt(0)
	global_atomic_cmpswap_x2 v[4:5], v28, v[24:27], s[6:7] offset:24 glc
	s_waitcnt vmcnt(0)
	buffer_wbinvl1_vol
	v_cmp_eq_u64_e32 vcc, v[4:5], v[26:27]
	s_or_b64 s[28:29], vcc, s[28:29]
	s_andn2_b64 exec, exec, s[28:29]
	s_cbranch_execnz .LBB4_761
; %bb.762:                              ;   in Loop: Header=BB4_703 Depth=1
	s_or_b64 exec, exec, s[28:29]
.LBB4_763:                              ;   in Loop: Header=BB4_703 Depth=1
	s_or_b64 exec, exec, s[26:27]
.LBB4_764:                              ;   in Loop: Header=BB4_703 Depth=1
	s_or_b64 exec, exec, s[24:25]
	global_load_dwordx2 v[8:9], v28, s[6:7] offset:40
	global_load_dwordx4 v[24:27], v28, s[6:7]
	v_readfirstlane_b32 s24, v4
	v_readfirstlane_b32 s25, v5
	s_mov_b64 s[26:27], exec
	s_waitcnt vmcnt(1)
	v_readfirstlane_b32 s28, v8
	v_readfirstlane_b32 s29, v9
	s_and_b64 s[28:29], s[24:25], s[28:29]
	s_mul_i32 s15, s29, 24
	s_mul_hi_u32 vcc_lo, s28, 24
	s_mul_i32 vcc_hi, s28, 24
	s_add_i32 s15, vcc_lo, s15
	v_mov_b32_e32 v4, s15
	s_waitcnt vmcnt(0)
	v_add_co_u32_e32 v29, vcc, vcc_hi, v24
	v_addc_co_u32_e32 v30, vcc, v25, v4, vcc
	s_and_saveexec_b64 vcc, s[4:5]
	s_cbranch_execz .LBB4_766
; %bb.765:                              ;   in Loop: Header=BB4_703 Depth=1
	v_mov_b32_e32 v4, s26
	v_mov_b32_e32 v5, s27
	global_store_dwordx4 v[29:30], v[4:7], off offset:8
.LBB4_766:                              ;   in Loop: Header=BB4_703 Depth=1
	s_or_b64 exec, exec, vcc
	s_lshl_b64 s[26:27], s[28:29], 12
	v_mov_b32_e32 v4, s27
	v_add_co_u32_e32 v26, vcc, s26, v26
	v_addc_co_u32_e32 v34, vcc, v27, v4, vcc
	v_cmp_gt_u64_e64 vcc, s[20:21], 56
	v_or_b32_e32 v5, v2, v33
	s_lshl_b32 s15, s22, 2
	v_cndmask_b32_e32 v2, v5, v2, vcc
	s_add_i32 s15, s15, 28
	v_or_b32_e32 v4, 0, v3
	s_and_b32 s15, s15, 0x1e0
	v_and_b32_e32 v2, 0xffffff1f, v2
	v_cndmask_b32_e32 v9, v4, v3, vcc
	v_or_b32_e32 v8, s15, v2
	v_readfirstlane_b32 s26, v26
	v_readfirstlane_b32 s27, v34
	s_nop 4
	global_store_dwordx4 v31, v[8:11], s[26:27]
	global_store_dwordx4 v31, v[12:15], s[26:27] offset:16
	global_store_dwordx4 v31, v[16:19], s[26:27] offset:32
	;; [unrolled: 1-line block ×3, first 2 shown]
	s_and_saveexec_b64 s[26:27], s[4:5]
	s_cbranch_execz .LBB4_774
; %bb.767:                              ;   in Loop: Header=BB4_703 Depth=1
	global_load_dwordx2 v[12:13], v28, s[6:7] offset:32 glc
	global_load_dwordx2 v[2:3], v28, s[6:7] offset:40
	v_mov_b32_e32 v10, s24
	v_mov_b32_e32 v11, s25
	s_waitcnt vmcnt(0)
	v_readfirstlane_b32 s28, v2
	v_readfirstlane_b32 s29, v3
	s_and_b64 s[28:29], s[28:29], s[24:25]
	s_mul_i32 s15, s29, 24
	s_mul_hi_u32 s29, s28, 24
	s_mul_i32 s28, s28, 24
	s_add_i32 s15, s29, s15
	v_mov_b32_e32 v2, s15
	v_add_co_u32_e32 v8, vcc, s28, v24
	v_addc_co_u32_e32 v9, vcc, v25, v2, vcc
	global_store_dwordx2 v[8:9], v[12:13], off
	s_waitcnt vmcnt(0)
	global_atomic_cmpswap_x2 v[4:5], v28, v[10:13], s[6:7] offset:32 glc
	s_waitcnt vmcnt(0)
	v_cmp_ne_u64_e32 vcc, v[4:5], v[12:13]
	s_and_saveexec_b64 s[28:29], vcc
	s_cbranch_execz .LBB4_770
; %bb.768:                              ;   in Loop: Header=BB4_703 Depth=1
	s_mov_b64 s[30:31], 0
.LBB4_769:                              ;   Parent Loop BB4_703 Depth=1
                                        ; =>  This Inner Loop Header: Depth=2
	s_sleep 1
	global_store_dwordx2 v[8:9], v[4:5], off
	v_mov_b32_e32 v2, s24
	v_mov_b32_e32 v3, s25
	s_waitcnt vmcnt(0)
	global_atomic_cmpswap_x2 v[2:3], v28, v[2:5], s[6:7] offset:32 glc
	s_waitcnt vmcnt(0)
	v_cmp_eq_u64_e32 vcc, v[2:3], v[4:5]
	v_mov_b32_e32 v5, v3
	s_or_b64 s[30:31], vcc, s[30:31]
	v_mov_b32_e32 v4, v2
	s_andn2_b64 exec, exec, s[30:31]
	s_cbranch_execnz .LBB4_769
.LBB4_770:                              ;   in Loop: Header=BB4_703 Depth=1
	s_or_b64 exec, exec, s[28:29]
	global_load_dwordx2 v[2:3], v28, s[6:7] offset:16
	s_mov_b64 s[30:31], exec
	v_mbcnt_lo_u32_b32 v4, s30, 0
	v_mbcnt_hi_u32_b32 v4, s31, v4
	v_cmp_eq_u32_e32 vcc, 0, v4
	s_and_saveexec_b64 s[28:29], vcc
	s_cbranch_execz .LBB4_772
; %bb.771:                              ;   in Loop: Header=BB4_703 Depth=1
	s_bcnt1_i32_b64 s15, s[30:31]
	v_mov_b32_e32 v27, s15
	s_waitcnt vmcnt(0)
	global_atomic_add_x2 v[2:3], v[27:28], off offset:8
.LBB4_772:                              ;   in Loop: Header=BB4_703 Depth=1
	s_or_b64 exec, exec, s[28:29]
	s_waitcnt vmcnt(0)
	global_load_dwordx2 v[4:5], v[2:3], off offset:16
	s_waitcnt vmcnt(0)
	v_cmp_eq_u64_e32 vcc, 0, v[4:5]
	s_cbranch_vccnz .LBB4_774
; %bb.773:                              ;   in Loop: Header=BB4_703 Depth=1
	global_load_dword v27, v[2:3], off offset:24
	s_waitcnt vmcnt(0)
	v_and_b32_e32 v2, 0xffffff, v27
	v_readfirstlane_b32 m0, v2
	global_store_dwordx2 v[4:5], v[27:28], off
	s_sendmsg sendmsg(MSG_INTERRUPT)
.LBB4_774:                              ;   in Loop: Header=BB4_703 Depth=1
	s_or_b64 exec, exec, s[26:27]
	v_add_co_u32_e32 v2, vcc, v26, v31
	v_addc_co_u32_e32 v3, vcc, 0, v34, vcc
	s_branch .LBB4_778
.LBB4_775:                              ;   in Loop: Header=BB4_778 Depth=2
	s_or_b64 exec, exec, s[26:27]
	v_readfirstlane_b32 s15, v4
	s_cmp_eq_u32 s15, 0
	s_cbranch_scc1 .LBB4_777
; %bb.776:                              ;   in Loop: Header=BB4_778 Depth=2
	s_sleep 1
	s_cbranch_execnz .LBB4_778
	s_branch .LBB4_780
.LBB4_777:                              ;   in Loop: Header=BB4_703 Depth=1
	s_branch .LBB4_780
.LBB4_778:                              ;   Parent Loop BB4_703 Depth=1
                                        ; =>  This Inner Loop Header: Depth=2
	v_mov_b32_e32 v4, 1
	s_and_saveexec_b64 s[26:27], s[4:5]
	s_cbranch_execz .LBB4_775
; %bb.779:                              ;   in Loop: Header=BB4_778 Depth=2
	global_load_dword v4, v[29:30], off offset:20 glc
	s_waitcnt vmcnt(0)
	buffer_wbinvl1_vol
	v_and_b32_e32 v4, 1, v4
	s_branch .LBB4_775
.LBB4_780:                              ;   in Loop: Header=BB4_703 Depth=1
	global_load_dwordx4 v[2:5], v[2:3], off
	s_and_saveexec_b64 s[26:27], s[4:5]
	s_cbranch_execz .LBB4_702
; %bb.781:                              ;   in Loop: Header=BB4_703 Depth=1
	global_load_dwordx2 v[4:5], v28, s[6:7] offset:40
	global_load_dwordx2 v[12:13], v28, s[6:7] offset:24 glc
	global_load_dwordx2 v[14:15], v28, s[6:7]
	v_mov_b32_e32 v9, s25
	s_waitcnt vmcnt(2)
	v_add_co_u32_e32 v10, vcc, 1, v4
	v_addc_co_u32_e32 v11, vcc, 0, v5, vcc
	v_add_co_u32_e32 v8, vcc, s24, v10
	v_addc_co_u32_e32 v9, vcc, v11, v9, vcc
	v_cmp_eq_u64_e32 vcc, 0, v[8:9]
	v_cndmask_b32_e32 v9, v9, v11, vcc
	v_cndmask_b32_e32 v8, v8, v10, vcc
	v_and_b32_e32 v5, v9, v5
	v_and_b32_e32 v4, v8, v4
	v_mul_lo_u32 v5, v5, 24
	v_mul_hi_u32 v11, v4, 24
	v_mul_lo_u32 v4, v4, 24
	s_waitcnt vmcnt(1)
	v_mov_b32_e32 v10, v12
	v_add_u32_e32 v5, v11, v5
	s_waitcnt vmcnt(0)
	v_add_co_u32_e32 v4, vcc, v14, v4
	v_addc_co_u32_e32 v5, vcc, v15, v5, vcc
	global_store_dwordx2 v[4:5], v[12:13], off
	v_mov_b32_e32 v11, v13
	s_waitcnt vmcnt(0)
	global_atomic_cmpswap_x2 v[10:11], v28, v[8:11], s[6:7] offset:24 glc
	s_waitcnt vmcnt(0)
	v_cmp_ne_u64_e32 vcc, v[10:11], v[12:13]
	s_and_b64 exec, exec, vcc
	s_cbranch_execz .LBB4_702
; %bb.782:                              ;   in Loop: Header=BB4_703 Depth=1
	s_mov_b64 s[4:5], 0
.LBB4_783:                              ;   Parent Loop BB4_703 Depth=1
                                        ; =>  This Inner Loop Header: Depth=2
	s_sleep 1
	global_store_dwordx2 v[4:5], v[10:11], off
	s_waitcnt vmcnt(0)
	global_atomic_cmpswap_x2 v[12:13], v28, v[8:11], s[6:7] offset:24 glc
	s_waitcnt vmcnt(0)
	v_cmp_eq_u64_e32 vcc, v[12:13], v[10:11]
	v_mov_b32_e32 v10, v12
	s_or_b64 s[4:5], vcc, s[4:5]
	v_mov_b32_e32 v11, v13
	s_andn2_b64 exec, exec, s[4:5]
	s_cbranch_execnz .LBB4_783
	s_branch .LBB4_702
.LBB4_784:
	s_branch .LBB4_812
.LBB4_785:
                                        ; implicit-def: $vgpr2_vgpr3
	s_cbranch_execz .LBB4_812
; %bb.786:
	v_readfirstlane_b32 s4, v32
	v_mov_b32_e32 v8, 0
	v_mov_b32_e32 v9, 0
	v_cmp_eq_u32_e64 s[4:5], s4, v32
	s_and_saveexec_b64 s[18:19], s[4:5]
	s_cbranch_execz .LBB4_792
; %bb.787:
	s_waitcnt vmcnt(0)
	v_mov_b32_e32 v2, 0
	global_load_dwordx2 v[5:6], v2, s[6:7] offset:24 glc
	s_waitcnt vmcnt(0)
	buffer_wbinvl1_vol
	global_load_dwordx2 v[3:4], v2, s[6:7] offset:40
	global_load_dwordx2 v[7:8], v2, s[6:7]
	s_waitcnt vmcnt(1)
	v_and_b32_e32 v3, v3, v5
	v_and_b32_e32 v4, v4, v6
	v_mul_lo_u32 v4, v4, 24
	v_mul_hi_u32 v9, v3, 24
	v_mul_lo_u32 v3, v3, 24
	v_add_u32_e32 v4, v9, v4
	s_waitcnt vmcnt(0)
	v_add_co_u32_e32 v3, vcc, v7, v3
	v_addc_co_u32_e32 v4, vcc, v8, v4, vcc
	global_load_dwordx2 v[3:4], v[3:4], off glc
	s_waitcnt vmcnt(0)
	global_atomic_cmpswap_x2 v[8:9], v2, v[3:6], s[6:7] offset:24 glc
	s_waitcnt vmcnt(0)
	buffer_wbinvl1_vol
	v_cmp_ne_u64_e32 vcc, v[8:9], v[5:6]
	s_and_saveexec_b64 s[20:21], vcc
	s_cbranch_execz .LBB4_791
; %bb.788:
	s_mov_b64 s[22:23], 0
.LBB4_789:                              ; =>This Inner Loop Header: Depth=1
	s_sleep 1
	global_load_dwordx2 v[3:4], v2, s[6:7] offset:40
	global_load_dwordx2 v[10:11], v2, s[6:7]
	v_mov_b32_e32 v5, v8
	v_mov_b32_e32 v6, v9
	s_waitcnt vmcnt(1)
	v_and_b32_e32 v3, v3, v5
	s_waitcnt vmcnt(0)
	v_mad_u64_u32 v[7:8], s[24:25], v3, 24, v[10:11]
	v_and_b32_e32 v4, v4, v6
	v_mov_b32_e32 v3, v8
	v_mad_u64_u32 v[3:4], s[24:25], v4, 24, v[3:4]
	v_mov_b32_e32 v8, v3
	global_load_dwordx2 v[3:4], v[7:8], off glc
	s_waitcnt vmcnt(0)
	global_atomic_cmpswap_x2 v[8:9], v2, v[3:6], s[6:7] offset:24 glc
	s_waitcnt vmcnt(0)
	buffer_wbinvl1_vol
	v_cmp_eq_u64_e32 vcc, v[8:9], v[5:6]
	s_or_b64 s[22:23], vcc, s[22:23]
	s_andn2_b64 exec, exec, s[22:23]
	s_cbranch_execnz .LBB4_789
; %bb.790:
	s_or_b64 exec, exec, s[22:23]
.LBB4_791:
	s_or_b64 exec, exec, s[20:21]
.LBB4_792:
	s_or_b64 exec, exec, s[18:19]
	s_waitcnt vmcnt(0)
	v_mov_b32_e32 v2, 0
	global_load_dwordx2 v[10:11], v2, s[6:7] offset:40
	global_load_dwordx4 v[4:7], v2, s[6:7]
	v_readfirstlane_b32 s18, v8
	v_readfirstlane_b32 s19, v9
	s_mov_b64 s[20:21], exec
	s_waitcnt vmcnt(1)
	v_readfirstlane_b32 s22, v10
	v_readfirstlane_b32 s23, v11
	s_and_b64 s[22:23], s[18:19], s[22:23]
	s_mul_i32 s15, s23, 24
	s_mul_hi_u32 s24, s22, 24
	s_mul_i32 s25, s22, 24
	s_add_i32 s15, s24, s15
	v_mov_b32_e32 v3, s15
	s_waitcnt vmcnt(0)
	v_add_co_u32_e32 v8, vcc, s25, v4
	v_addc_co_u32_e32 v9, vcc, v5, v3, vcc
	s_and_saveexec_b64 s[24:25], s[4:5]
	s_cbranch_execz .LBB4_794
; %bb.793:
	v_mov_b32_e32 v10, s20
	v_mov_b32_e32 v11, s21
	;; [unrolled: 1-line block ×4, first 2 shown]
	global_store_dwordx4 v[8:9], v[10:13], off offset:8
.LBB4_794:
	s_or_b64 exec, exec, s[24:25]
	s_lshl_b64 s[20:21], s[22:23], 12
	v_mov_b32_e32 v3, s21
	v_add_co_u32_e32 v10, vcc, s20, v6
	v_addc_co_u32_e32 v11, vcc, v7, v3, vcc
	s_movk_i32 s15, 0xff1f
	v_and_or_b32 v0, v0, s15, 32
	s_mov_b32 s20, 0
	v_mov_b32_e32 v3, v2
	v_readfirstlane_b32 s24, v10
	v_readfirstlane_b32 s25, v11
	v_add_co_u32_e32 v6, vcc, v10, v31
	s_mov_b32 s21, s20
	s_mov_b32 s22, s20
	s_mov_b32 s23, s20
	s_nop 0
	global_store_dwordx4 v31, v[0:3], s[24:25]
	v_addc_co_u32_e32 v7, vcc, 0, v11, vcc
	v_mov_b32_e32 v0, s20
	v_mov_b32_e32 v1, s21
	;; [unrolled: 1-line block ×4, first 2 shown]
	global_store_dwordx4 v31, v[0:3], s[24:25] offset:16
	global_store_dwordx4 v31, v[0:3], s[24:25] offset:32
	;; [unrolled: 1-line block ×3, first 2 shown]
	s_and_saveexec_b64 s[20:21], s[4:5]
	s_cbranch_execz .LBB4_802
; %bb.795:
	v_mov_b32_e32 v10, 0
	global_load_dwordx2 v[13:14], v10, s[6:7] offset:32 glc
	global_load_dwordx2 v[0:1], v10, s[6:7] offset:40
	v_mov_b32_e32 v11, s18
	v_mov_b32_e32 v12, s19
	s_waitcnt vmcnt(0)
	v_readfirstlane_b32 s22, v0
	v_readfirstlane_b32 s23, v1
	s_and_b64 s[22:23], s[22:23], s[18:19]
	s_mul_i32 s15, s23, 24
	s_mul_hi_u32 s23, s22, 24
	s_mul_i32 s22, s22, 24
	s_add_i32 s15, s23, s15
	v_mov_b32_e32 v0, s15
	v_add_co_u32_e32 v4, vcc, s22, v4
	v_addc_co_u32_e32 v5, vcc, v5, v0, vcc
	global_store_dwordx2 v[4:5], v[13:14], off
	s_waitcnt vmcnt(0)
	global_atomic_cmpswap_x2 v[2:3], v10, v[11:14], s[6:7] offset:32 glc
	s_waitcnt vmcnt(0)
	v_cmp_ne_u64_e32 vcc, v[2:3], v[13:14]
	s_and_saveexec_b64 s[22:23], vcc
	s_cbranch_execz .LBB4_798
; %bb.796:
	s_mov_b64 s[24:25], 0
.LBB4_797:                              ; =>This Inner Loop Header: Depth=1
	s_sleep 1
	global_store_dwordx2 v[4:5], v[2:3], off
	v_mov_b32_e32 v0, s18
	v_mov_b32_e32 v1, s19
	s_waitcnt vmcnt(0)
	global_atomic_cmpswap_x2 v[0:1], v10, v[0:3], s[6:7] offset:32 glc
	s_waitcnt vmcnt(0)
	v_cmp_eq_u64_e32 vcc, v[0:1], v[2:3]
	v_mov_b32_e32 v3, v1
	s_or_b64 s[24:25], vcc, s[24:25]
	v_mov_b32_e32 v2, v0
	s_andn2_b64 exec, exec, s[24:25]
	s_cbranch_execnz .LBB4_797
.LBB4_798:
	s_or_b64 exec, exec, s[22:23]
	v_mov_b32_e32 v3, 0
	global_load_dwordx2 v[0:1], v3, s[6:7] offset:16
	s_mov_b64 s[22:23], exec
	v_mbcnt_lo_u32_b32 v2, s22, 0
	v_mbcnt_hi_u32_b32 v2, s23, v2
	v_cmp_eq_u32_e32 vcc, 0, v2
	s_and_saveexec_b64 s[24:25], vcc
	s_cbranch_execz .LBB4_800
; %bb.799:
	s_bcnt1_i32_b64 s15, s[22:23]
	v_mov_b32_e32 v2, s15
	s_waitcnt vmcnt(0)
	global_atomic_add_x2 v[0:1], v[2:3], off offset:8
.LBB4_800:
	s_or_b64 exec, exec, s[24:25]
	s_waitcnt vmcnt(0)
	global_load_dwordx2 v[2:3], v[0:1], off offset:16
	s_waitcnt vmcnt(0)
	v_cmp_eq_u64_e32 vcc, 0, v[2:3]
	s_cbranch_vccnz .LBB4_802
; %bb.801:
	global_load_dword v0, v[0:1], off offset:24
	v_mov_b32_e32 v1, 0
	s_waitcnt vmcnt(0)
	global_store_dwordx2 v[2:3], v[0:1], off
	v_and_b32_e32 v0, 0xffffff, v0
	v_readfirstlane_b32 m0, v0
	s_sendmsg sendmsg(MSG_INTERRUPT)
.LBB4_802:
	s_or_b64 exec, exec, s[20:21]
	s_branch .LBB4_806
.LBB4_803:                              ;   in Loop: Header=BB4_806 Depth=1
	s_or_b64 exec, exec, s[20:21]
	v_readfirstlane_b32 s15, v0
	s_cmp_eq_u32 s15, 0
	s_cbranch_scc1 .LBB4_805
; %bb.804:                              ;   in Loop: Header=BB4_806 Depth=1
	s_sleep 1
	s_cbranch_execnz .LBB4_806
	s_branch .LBB4_808
.LBB4_805:
	s_branch .LBB4_808
.LBB4_806:                              ; =>This Inner Loop Header: Depth=1
	v_mov_b32_e32 v0, 1
	s_and_saveexec_b64 s[20:21], s[4:5]
	s_cbranch_execz .LBB4_803
; %bb.807:                              ;   in Loop: Header=BB4_806 Depth=1
	global_load_dword v0, v[8:9], off offset:20 glc
	s_waitcnt vmcnt(0)
	buffer_wbinvl1_vol
	v_and_b32_e32 v0, 1, v0
	s_branch .LBB4_803
.LBB4_808:
	global_load_dwordx2 v[2:3], v[6:7], off
	s_and_saveexec_b64 s[20:21], s[4:5]
	s_cbranch_execz .LBB4_811
; %bb.809:
	v_mov_b32_e32 v8, 0
	global_load_dwordx2 v[0:1], v8, s[6:7] offset:40
	global_load_dwordx2 v[9:10], v8, s[6:7] offset:24 glc
	global_load_dwordx2 v[11:12], v8, s[6:7]
	v_mov_b32_e32 v5, s19
	s_mov_b64 s[4:5], 0
	s_waitcnt vmcnt(2)
	v_add_co_u32_e32 v6, vcc, 1, v0
	v_addc_co_u32_e32 v7, vcc, 0, v1, vcc
	v_add_co_u32_e32 v4, vcc, s18, v6
	v_addc_co_u32_e32 v5, vcc, v7, v5, vcc
	v_cmp_eq_u64_e32 vcc, 0, v[4:5]
	v_cndmask_b32_e32 v5, v5, v7, vcc
	v_cndmask_b32_e32 v4, v4, v6, vcc
	v_and_b32_e32 v1, v5, v1
	v_and_b32_e32 v0, v4, v0
	v_mul_lo_u32 v1, v1, 24
	v_mul_hi_u32 v7, v0, 24
	v_mul_lo_u32 v0, v0, 24
	s_waitcnt vmcnt(1)
	v_mov_b32_e32 v6, v9
	v_add_u32_e32 v1, v7, v1
	s_waitcnt vmcnt(0)
	v_add_co_u32_e32 v0, vcc, v11, v0
	v_addc_co_u32_e32 v1, vcc, v12, v1, vcc
	global_store_dwordx2 v[0:1], v[9:10], off
	v_mov_b32_e32 v7, v10
	s_waitcnt vmcnt(0)
	global_atomic_cmpswap_x2 v[6:7], v8, v[4:7], s[6:7] offset:24 glc
	s_waitcnt vmcnt(0)
	v_cmp_ne_u64_e32 vcc, v[6:7], v[9:10]
	s_and_b64 exec, exec, vcc
	s_cbranch_execz .LBB4_811
.LBB4_810:                              ; =>This Inner Loop Header: Depth=1
	s_sleep 1
	global_store_dwordx2 v[0:1], v[6:7], off
	s_waitcnt vmcnt(0)
	global_atomic_cmpswap_x2 v[9:10], v8, v[4:7], s[6:7] offset:24 glc
	s_waitcnt vmcnt(0)
	v_cmp_eq_u64_e32 vcc, v[9:10], v[6:7]
	v_mov_b32_e32 v6, v9
	s_or_b64 s[4:5], vcc, s[4:5]
	v_mov_b32_e32 v7, v10
	s_andn2_b64 exec, exec, s[4:5]
	s_cbranch_execnz .LBB4_810
.LBB4_811:
	s_or_b64 exec, exec, s[20:21]
.LBB4_812:
	v_readfirstlane_b32 s4, v32
	s_waitcnt vmcnt(0)
	v_mov_b32_e32 v0, 0
	v_mov_b32_e32 v1, 0
	v_cmp_eq_u32_e64 s[4:5], s4, v32
	s_and_saveexec_b64 s[18:19], s[4:5]
	s_cbranch_execz .LBB4_818
; %bb.813:
	v_mov_b32_e32 v4, 0
	global_load_dwordx2 v[7:8], v4, s[6:7] offset:24 glc
	s_waitcnt vmcnt(0)
	buffer_wbinvl1_vol
	global_load_dwordx2 v[0:1], v4, s[6:7] offset:40
	global_load_dwordx2 v[5:6], v4, s[6:7]
	s_waitcnt vmcnt(1)
	v_and_b32_e32 v0, v0, v7
	v_and_b32_e32 v1, v1, v8
	v_mul_lo_u32 v1, v1, 24
	v_mul_hi_u32 v9, v0, 24
	v_mul_lo_u32 v0, v0, 24
	v_add_u32_e32 v1, v9, v1
	s_waitcnt vmcnt(0)
	v_add_co_u32_e32 v0, vcc, v5, v0
	v_addc_co_u32_e32 v1, vcc, v6, v1, vcc
	global_load_dwordx2 v[5:6], v[0:1], off glc
	s_waitcnt vmcnt(0)
	global_atomic_cmpswap_x2 v[0:1], v4, v[5:8], s[6:7] offset:24 glc
	s_waitcnt vmcnt(0)
	buffer_wbinvl1_vol
	v_cmp_ne_u64_e32 vcc, v[0:1], v[7:8]
	s_and_saveexec_b64 s[20:21], vcc
	s_cbranch_execz .LBB4_817
; %bb.814:
	s_mov_b64 s[22:23], 0
.LBB4_815:                              ; =>This Inner Loop Header: Depth=1
	s_sleep 1
	global_load_dwordx2 v[5:6], v4, s[6:7] offset:40
	global_load_dwordx2 v[9:10], v4, s[6:7]
	v_mov_b32_e32 v8, v1
	v_mov_b32_e32 v7, v0
	s_waitcnt vmcnt(1)
	v_and_b32_e32 v0, v5, v7
	s_waitcnt vmcnt(0)
	v_mad_u64_u32 v[0:1], s[24:25], v0, 24, v[9:10]
	v_and_b32_e32 v5, v6, v8
	v_mad_u64_u32 v[5:6], s[24:25], v5, 24, v[1:2]
	v_mov_b32_e32 v1, v5
	global_load_dwordx2 v[5:6], v[0:1], off glc
	s_waitcnt vmcnt(0)
	global_atomic_cmpswap_x2 v[0:1], v4, v[5:8], s[6:7] offset:24 glc
	s_waitcnt vmcnt(0)
	buffer_wbinvl1_vol
	v_cmp_eq_u64_e32 vcc, v[0:1], v[7:8]
	s_or_b64 s[22:23], vcc, s[22:23]
	s_andn2_b64 exec, exec, s[22:23]
	s_cbranch_execnz .LBB4_815
; %bb.816:
	s_or_b64 exec, exec, s[22:23]
.LBB4_817:
	s_or_b64 exec, exec, s[20:21]
.LBB4_818:
	s_or_b64 exec, exec, s[18:19]
	v_mov_b32_e32 v5, 0
	global_load_dwordx2 v[10:11], v5, s[6:7] offset:40
	global_load_dwordx4 v[6:9], v5, s[6:7]
	v_readfirstlane_b32 s18, v0
	v_readfirstlane_b32 s19, v1
	s_mov_b64 s[20:21], exec
	s_waitcnt vmcnt(1)
	v_readfirstlane_b32 s22, v10
	v_readfirstlane_b32 s23, v11
	s_and_b64 s[22:23], s[18:19], s[22:23]
	s_mul_i32 s15, s23, 24
	s_mul_hi_u32 s24, s22, 24
	s_mul_i32 s25, s22, 24
	s_add_i32 s15, s24, s15
	v_mov_b32_e32 v0, s15
	s_waitcnt vmcnt(0)
	v_add_co_u32_e32 v10, vcc, s25, v6
	v_addc_co_u32_e32 v11, vcc, v7, v0, vcc
	s_and_saveexec_b64 s[24:25], s[4:5]
	s_cbranch_execz .LBB4_820
; %bb.819:
	v_mov_b32_e32 v12, s20
	v_mov_b32_e32 v13, s21
	;; [unrolled: 1-line block ×4, first 2 shown]
	global_store_dwordx4 v[10:11], v[12:15], off offset:8
.LBB4_820:
	s_or_b64 exec, exec, s[24:25]
	s_lshl_b64 s[20:21], s[22:23], 12
	v_mov_b32_e32 v0, s21
	v_add_co_u32_e32 v1, vcc, s20, v8
	v_addc_co_u32_e32 v0, vcc, v9, v0, vcc
	s_movk_i32 s15, 0xff1d
	v_and_or_b32 v2, v2, s15, 34
	s_mov_b32 s20, 0
	v_mov_b32_e32 v4, 58
	v_readfirstlane_b32 s24, v1
	v_readfirstlane_b32 s25, v0
	s_mov_b32 s21, s20
	s_mov_b32 s22, s20
	;; [unrolled: 1-line block ×3, first 2 shown]
	s_nop 1
	global_store_dwordx4 v31, v[2:5], s[24:25]
	v_mov_b32_e32 v0, s20
	v_mov_b32_e32 v1, s21
	v_mov_b32_e32 v2, s22
	v_mov_b32_e32 v3, s23
	global_store_dwordx4 v31, v[0:3], s[24:25] offset:16
	global_store_dwordx4 v31, v[0:3], s[24:25] offset:32
	;; [unrolled: 1-line block ×3, first 2 shown]
	s_and_saveexec_b64 s[20:21], s[4:5]
	s_cbranch_execz .LBB4_828
; %bb.821:
	v_mov_b32_e32 v8, 0
	global_load_dwordx2 v[14:15], v8, s[6:7] offset:32 glc
	global_load_dwordx2 v[0:1], v8, s[6:7] offset:40
	v_mov_b32_e32 v12, s18
	v_mov_b32_e32 v13, s19
	s_waitcnt vmcnt(0)
	v_readfirstlane_b32 s22, v0
	v_readfirstlane_b32 s23, v1
	s_and_b64 s[22:23], s[22:23], s[18:19]
	s_mul_i32 s15, s23, 24
	s_mul_hi_u32 s23, s22, 24
	s_mul_i32 s22, s22, 24
	s_add_i32 s15, s23, s15
	v_mov_b32_e32 v0, s15
	v_add_co_u32_e32 v4, vcc, s22, v6
	v_addc_co_u32_e32 v5, vcc, v7, v0, vcc
	global_store_dwordx2 v[4:5], v[14:15], off
	s_waitcnt vmcnt(0)
	global_atomic_cmpswap_x2 v[2:3], v8, v[12:15], s[6:7] offset:32 glc
	s_waitcnt vmcnt(0)
	v_cmp_ne_u64_e32 vcc, v[2:3], v[14:15]
	s_and_saveexec_b64 s[22:23], vcc
	s_cbranch_execz .LBB4_824
; %bb.822:
	s_mov_b64 s[24:25], 0
.LBB4_823:                              ; =>This Inner Loop Header: Depth=1
	s_sleep 1
	global_store_dwordx2 v[4:5], v[2:3], off
	v_mov_b32_e32 v0, s18
	v_mov_b32_e32 v1, s19
	s_waitcnt vmcnt(0)
	global_atomic_cmpswap_x2 v[0:1], v8, v[0:3], s[6:7] offset:32 glc
	s_waitcnt vmcnt(0)
	v_cmp_eq_u64_e32 vcc, v[0:1], v[2:3]
	v_mov_b32_e32 v3, v1
	s_or_b64 s[24:25], vcc, s[24:25]
	v_mov_b32_e32 v2, v0
	s_andn2_b64 exec, exec, s[24:25]
	s_cbranch_execnz .LBB4_823
.LBB4_824:
	s_or_b64 exec, exec, s[22:23]
	v_mov_b32_e32 v3, 0
	global_load_dwordx2 v[0:1], v3, s[6:7] offset:16
	s_mov_b64 s[22:23], exec
	v_mbcnt_lo_u32_b32 v2, s22, 0
	v_mbcnt_hi_u32_b32 v2, s23, v2
	v_cmp_eq_u32_e32 vcc, 0, v2
	s_and_saveexec_b64 s[24:25], vcc
	s_cbranch_execz .LBB4_826
; %bb.825:
	s_bcnt1_i32_b64 s15, s[22:23]
	v_mov_b32_e32 v2, s15
	s_waitcnt vmcnt(0)
	global_atomic_add_x2 v[0:1], v[2:3], off offset:8
.LBB4_826:
	s_or_b64 exec, exec, s[24:25]
	s_waitcnt vmcnt(0)
	global_load_dwordx2 v[2:3], v[0:1], off offset:16
	s_waitcnt vmcnt(0)
	v_cmp_eq_u64_e32 vcc, 0, v[2:3]
	s_cbranch_vccnz .LBB4_828
; %bb.827:
	global_load_dword v0, v[0:1], off offset:24
	v_mov_b32_e32 v1, 0
	s_waitcnt vmcnt(0)
	global_store_dwordx2 v[2:3], v[0:1], off
	v_and_b32_e32 v0, 0xffffff, v0
	v_readfirstlane_b32 m0, v0
	s_sendmsg sendmsg(MSG_INTERRUPT)
.LBB4_828:
	s_or_b64 exec, exec, s[20:21]
	s_branch .LBB4_832
.LBB4_829:                              ;   in Loop: Header=BB4_832 Depth=1
	s_or_b64 exec, exec, s[20:21]
	v_readfirstlane_b32 s15, v0
	s_cmp_eq_u32 s15, 0
	s_cbranch_scc1 .LBB4_831
; %bb.830:                              ;   in Loop: Header=BB4_832 Depth=1
	s_sleep 1
	s_cbranch_execnz .LBB4_832
	s_branch .LBB4_834
.LBB4_831:
	s_branch .LBB4_834
.LBB4_832:                              ; =>This Inner Loop Header: Depth=1
	v_mov_b32_e32 v0, 1
	s_and_saveexec_b64 s[20:21], s[4:5]
	s_cbranch_execz .LBB4_829
; %bb.833:                              ;   in Loop: Header=BB4_832 Depth=1
	global_load_dword v0, v[10:11], off offset:20 glc
	s_waitcnt vmcnt(0)
	buffer_wbinvl1_vol
	v_and_b32_e32 v0, 1, v0
	s_branch .LBB4_829
.LBB4_834:
	s_and_saveexec_b64 s[20:21], s[4:5]
	s_cbranch_execz .LBB4_837
; %bb.835:
	v_mov_b32_e32 v6, 0
	global_load_dwordx2 v[2:3], v6, s[6:7] offset:40
	global_load_dwordx2 v[7:8], v6, s[6:7] offset:24 glc
	global_load_dwordx2 v[4:5], v6, s[6:7]
	v_mov_b32_e32 v1, s19
	s_mov_b64 s[4:5], 0
	s_waitcnt vmcnt(2)
	v_add_co_u32_e32 v9, vcc, 1, v2
	v_addc_co_u32_e32 v10, vcc, 0, v3, vcc
	v_add_co_u32_e32 v0, vcc, s18, v9
	v_addc_co_u32_e32 v1, vcc, v10, v1, vcc
	v_cmp_eq_u64_e32 vcc, 0, v[0:1]
	v_cndmask_b32_e32 v1, v1, v10, vcc
	v_cndmask_b32_e32 v0, v0, v9, vcc
	v_and_b32_e32 v3, v1, v3
	v_and_b32_e32 v2, v0, v2
	v_mul_lo_u32 v3, v3, 24
	v_mul_hi_u32 v9, v2, 24
	v_mul_lo_u32 v10, v2, 24
	s_waitcnt vmcnt(1)
	v_mov_b32_e32 v2, v7
	v_add_u32_e32 v3, v9, v3
	s_waitcnt vmcnt(0)
	v_add_co_u32_e32 v4, vcc, v4, v10
	v_addc_co_u32_e32 v5, vcc, v5, v3, vcc
	global_store_dwordx2 v[4:5], v[7:8], off
	v_mov_b32_e32 v3, v8
	s_waitcnt vmcnt(0)
	global_atomic_cmpswap_x2 v[2:3], v6, v[0:3], s[6:7] offset:24 glc
	s_waitcnt vmcnt(0)
	v_cmp_ne_u64_e32 vcc, v[2:3], v[7:8]
	s_and_b64 exec, exec, vcc
	s_cbranch_execz .LBB4_837
.LBB4_836:                              ; =>This Inner Loop Header: Depth=1
	s_sleep 1
	global_store_dwordx2 v[4:5], v[2:3], off
	s_waitcnt vmcnt(0)
	global_atomic_cmpswap_x2 v[7:8], v6, v[0:3], s[6:7] offset:24 glc
	s_waitcnt vmcnt(0)
	v_cmp_eq_u64_e32 vcc, v[7:8], v[2:3]
	v_mov_b32_e32 v2, v7
	s_or_b64 s[4:5], vcc, s[4:5]
	v_mov_b32_e32 v3, v8
	s_andn2_b64 exec, exec, s[4:5]
	s_cbranch_execnz .LBB4_836
.LBB4_837:
	s_or_b64 exec, exec, s[20:21]
	v_readfirstlane_b32 s4, v32
	v_mov_b32_e32 v5, 0
	v_mov_b32_e32 v6, 0
	v_cmp_eq_u32_e64 s[4:5], s4, v32
	s_and_saveexec_b64 s[18:19], s[4:5]
	s_cbranch_execz .LBB4_843
; %bb.838:
	v_mov_b32_e32 v0, 0
	global_load_dwordx2 v[3:4], v0, s[6:7] offset:24 glc
	s_waitcnt vmcnt(0)
	buffer_wbinvl1_vol
	global_load_dwordx2 v[1:2], v0, s[6:7] offset:40
	global_load_dwordx2 v[5:6], v0, s[6:7]
	s_waitcnt vmcnt(1)
	v_and_b32_e32 v1, v1, v3
	v_and_b32_e32 v2, v2, v4
	v_mul_lo_u32 v2, v2, 24
	v_mul_hi_u32 v7, v1, 24
	v_mul_lo_u32 v1, v1, 24
	v_add_u32_e32 v2, v7, v2
	s_waitcnt vmcnt(0)
	v_add_co_u32_e32 v1, vcc, v5, v1
	v_addc_co_u32_e32 v2, vcc, v6, v2, vcc
	global_load_dwordx2 v[1:2], v[1:2], off glc
	s_waitcnt vmcnt(0)
	global_atomic_cmpswap_x2 v[5:6], v0, v[1:4], s[6:7] offset:24 glc
	s_waitcnt vmcnt(0)
	buffer_wbinvl1_vol
	v_cmp_ne_u64_e32 vcc, v[5:6], v[3:4]
	s_and_saveexec_b64 s[20:21], vcc
	s_cbranch_execz .LBB4_842
; %bb.839:
	s_mov_b64 s[22:23], 0
.LBB4_840:                              ; =>This Inner Loop Header: Depth=1
	s_sleep 1
	global_load_dwordx2 v[1:2], v0, s[6:7] offset:40
	global_load_dwordx2 v[7:8], v0, s[6:7]
	v_mov_b32_e32 v3, v5
	v_mov_b32_e32 v4, v6
	s_waitcnt vmcnt(1)
	v_and_b32_e32 v1, v1, v3
	s_waitcnt vmcnt(0)
	v_mad_u64_u32 v[5:6], s[24:25], v1, 24, v[7:8]
	v_and_b32_e32 v2, v2, v4
	v_mov_b32_e32 v1, v6
	v_mad_u64_u32 v[1:2], s[24:25], v2, 24, v[1:2]
	v_mov_b32_e32 v6, v1
	global_load_dwordx2 v[1:2], v[5:6], off glc
	s_waitcnt vmcnt(0)
	global_atomic_cmpswap_x2 v[5:6], v0, v[1:4], s[6:7] offset:24 glc
	s_waitcnt vmcnt(0)
	buffer_wbinvl1_vol
	v_cmp_eq_u64_e32 vcc, v[5:6], v[3:4]
	s_or_b64 s[22:23], vcc, s[22:23]
	s_andn2_b64 exec, exec, s[22:23]
	s_cbranch_execnz .LBB4_840
; %bb.841:
	s_or_b64 exec, exec, s[22:23]
.LBB4_842:
	s_or_b64 exec, exec, s[20:21]
.LBB4_843:
	s_or_b64 exec, exec, s[18:19]
	v_mov_b32_e32 v4, 0
	global_load_dwordx2 v[7:8], v4, s[6:7] offset:40
	global_load_dwordx4 v[0:3], v4, s[6:7]
	v_readfirstlane_b32 s18, v5
	v_readfirstlane_b32 s19, v6
	s_mov_b64 s[20:21], exec
	s_waitcnt vmcnt(1)
	v_readfirstlane_b32 s22, v7
	v_readfirstlane_b32 s23, v8
	s_and_b64 s[22:23], s[18:19], s[22:23]
	s_mul_i32 s15, s23, 24
	s_mul_hi_u32 s24, s22, 24
	s_mul_i32 s25, s22, 24
	s_add_i32 s15, s24, s15
	v_mov_b32_e32 v5, s15
	s_waitcnt vmcnt(0)
	v_add_co_u32_e32 v7, vcc, s25, v0
	v_addc_co_u32_e32 v8, vcc, v1, v5, vcc
	s_and_saveexec_b64 s[24:25], s[4:5]
	s_cbranch_execz .LBB4_845
; %bb.844:
	v_mov_b32_e32 v9, s20
	v_mov_b32_e32 v10, s21
	;; [unrolled: 1-line block ×4, first 2 shown]
	global_store_dwordx4 v[7:8], v[9:12], off offset:8
.LBB4_845:
	s_or_b64 exec, exec, s[24:25]
	s_lshl_b64 s[20:21], s[22:23], 12
	v_mov_b32_e32 v5, s21
	v_add_co_u32_e32 v2, vcc, s20, v2
	v_addc_co_u32_e32 v11, vcc, v3, v5, vcc
	s_mov_b32 s20, 0
	v_mov_b32_e32 v3, 33
	v_mov_b32_e32 v5, v4
	;; [unrolled: 1-line block ×3, first 2 shown]
	v_readfirstlane_b32 s24, v2
	v_readfirstlane_b32 s25, v11
	v_add_co_u32_e32 v9, vcc, v2, v31
	s_mov_b32 s21, s20
	s_mov_b32 s22, s20
	;; [unrolled: 1-line block ×3, first 2 shown]
	s_nop 0
	global_store_dwordx4 v31, v[3:6], s[24:25]
	v_mov_b32_e32 v2, s20
	v_addc_co_u32_e32 v10, vcc, 0, v11, vcc
	v_mov_b32_e32 v3, s21
	v_mov_b32_e32 v4, s22
	v_mov_b32_e32 v5, s23
	global_store_dwordx4 v31, v[2:5], s[24:25] offset:16
	global_store_dwordx4 v31, v[2:5], s[24:25] offset:32
	global_store_dwordx4 v31, v[2:5], s[24:25] offset:48
	s_and_saveexec_b64 s[20:21], s[4:5]
	s_cbranch_execz .LBB4_853
; %bb.846:
	v_mov_b32_e32 v6, 0
	global_load_dwordx2 v[13:14], v6, s[6:7] offset:32 glc
	global_load_dwordx2 v[2:3], v6, s[6:7] offset:40
	v_mov_b32_e32 v11, s18
	v_mov_b32_e32 v12, s19
	s_waitcnt vmcnt(0)
	v_readfirstlane_b32 s22, v2
	v_readfirstlane_b32 s23, v3
	s_and_b64 s[22:23], s[22:23], s[18:19]
	s_mul_i32 s15, s23, 24
	s_mul_hi_u32 s23, s22, 24
	s_mul_i32 s22, s22, 24
	s_add_i32 s15, s23, s15
	v_mov_b32_e32 v2, s15
	v_add_co_u32_e32 v4, vcc, s22, v0
	v_addc_co_u32_e32 v5, vcc, v1, v2, vcc
	global_store_dwordx2 v[4:5], v[13:14], off
	s_waitcnt vmcnt(0)
	global_atomic_cmpswap_x2 v[2:3], v6, v[11:14], s[6:7] offset:32 glc
	s_waitcnt vmcnt(0)
	v_cmp_ne_u64_e32 vcc, v[2:3], v[13:14]
	s_and_saveexec_b64 s[22:23], vcc
	s_cbranch_execz .LBB4_849
; %bb.847:
	s_mov_b64 s[24:25], 0
.LBB4_848:                              ; =>This Inner Loop Header: Depth=1
	s_sleep 1
	global_store_dwordx2 v[4:5], v[2:3], off
	v_mov_b32_e32 v0, s18
	v_mov_b32_e32 v1, s19
	s_waitcnt vmcnt(0)
	global_atomic_cmpswap_x2 v[0:1], v6, v[0:3], s[6:7] offset:32 glc
	s_waitcnt vmcnt(0)
	v_cmp_eq_u64_e32 vcc, v[0:1], v[2:3]
	v_mov_b32_e32 v3, v1
	s_or_b64 s[24:25], vcc, s[24:25]
	v_mov_b32_e32 v2, v0
	s_andn2_b64 exec, exec, s[24:25]
	s_cbranch_execnz .LBB4_848
.LBB4_849:
	s_or_b64 exec, exec, s[22:23]
	v_mov_b32_e32 v3, 0
	global_load_dwordx2 v[0:1], v3, s[6:7] offset:16
	s_mov_b64 s[22:23], exec
	v_mbcnt_lo_u32_b32 v2, s22, 0
	v_mbcnt_hi_u32_b32 v2, s23, v2
	v_cmp_eq_u32_e32 vcc, 0, v2
	s_and_saveexec_b64 s[24:25], vcc
	s_cbranch_execz .LBB4_851
; %bb.850:
	s_bcnt1_i32_b64 s15, s[22:23]
	v_mov_b32_e32 v2, s15
	s_waitcnt vmcnt(0)
	global_atomic_add_x2 v[0:1], v[2:3], off offset:8
.LBB4_851:
	s_or_b64 exec, exec, s[24:25]
	s_waitcnt vmcnt(0)
	global_load_dwordx2 v[2:3], v[0:1], off offset:16
	s_waitcnt vmcnt(0)
	v_cmp_eq_u64_e32 vcc, 0, v[2:3]
	s_cbranch_vccnz .LBB4_853
; %bb.852:
	global_load_dword v0, v[0:1], off offset:24
	v_mov_b32_e32 v1, 0
	s_waitcnt vmcnt(0)
	global_store_dwordx2 v[2:3], v[0:1], off
	v_and_b32_e32 v0, 0xffffff, v0
	v_readfirstlane_b32 m0, v0
	s_sendmsg sendmsg(MSG_INTERRUPT)
.LBB4_853:
	s_or_b64 exec, exec, s[20:21]
	s_branch .LBB4_857
.LBB4_854:                              ;   in Loop: Header=BB4_857 Depth=1
	s_or_b64 exec, exec, s[20:21]
	v_readfirstlane_b32 s15, v0
	s_cmp_eq_u32 s15, 0
	s_cbranch_scc1 .LBB4_856
; %bb.855:                              ;   in Loop: Header=BB4_857 Depth=1
	s_sleep 1
	s_cbranch_execnz .LBB4_857
	s_branch .LBB4_859
.LBB4_856:
	s_branch .LBB4_859
.LBB4_857:                              ; =>This Inner Loop Header: Depth=1
	v_mov_b32_e32 v0, 1
	s_and_saveexec_b64 s[20:21], s[4:5]
	s_cbranch_execz .LBB4_854
; %bb.858:                              ;   in Loop: Header=BB4_857 Depth=1
	global_load_dword v0, v[7:8], off offset:20 glc
	s_waitcnt vmcnt(0)
	buffer_wbinvl1_vol
	v_and_b32_e32 v0, 1, v0
	s_branch .LBB4_854
.LBB4_859:
	global_load_dwordx2 v[0:1], v[9:10], off
	s_and_saveexec_b64 s[20:21], s[4:5]
	s_cbranch_execz .LBB4_862
; %bb.860:
	v_mov_b32_e32 v8, 0
	global_load_dwordx2 v[4:5], v8, s[6:7] offset:40
	global_load_dwordx2 v[9:10], v8, s[6:7] offset:24 glc
	global_load_dwordx2 v[6:7], v8, s[6:7]
	v_mov_b32_e32 v3, s19
	s_mov_b64 s[4:5], 0
	s_waitcnt vmcnt(2)
	v_add_co_u32_e32 v11, vcc, 1, v4
	v_addc_co_u32_e32 v12, vcc, 0, v5, vcc
	v_add_co_u32_e32 v2, vcc, s18, v11
	v_addc_co_u32_e32 v3, vcc, v12, v3, vcc
	v_cmp_eq_u64_e32 vcc, 0, v[2:3]
	v_cndmask_b32_e32 v3, v3, v12, vcc
	v_cndmask_b32_e32 v2, v2, v11, vcc
	v_and_b32_e32 v5, v3, v5
	v_and_b32_e32 v4, v2, v4
	v_mul_lo_u32 v5, v5, 24
	v_mul_hi_u32 v11, v4, 24
	v_mul_lo_u32 v12, v4, 24
	s_waitcnt vmcnt(1)
	v_mov_b32_e32 v4, v9
	v_add_u32_e32 v5, v11, v5
	s_waitcnt vmcnt(0)
	v_add_co_u32_e32 v6, vcc, v6, v12
	v_addc_co_u32_e32 v7, vcc, v7, v5, vcc
	global_store_dwordx2 v[6:7], v[9:10], off
	v_mov_b32_e32 v5, v10
	s_waitcnt vmcnt(0)
	global_atomic_cmpswap_x2 v[4:5], v8, v[2:5], s[6:7] offset:24 glc
	s_waitcnt vmcnt(0)
	v_cmp_ne_u64_e32 vcc, v[4:5], v[9:10]
	s_and_b64 exec, exec, vcc
	s_cbranch_execz .LBB4_862
.LBB4_861:                              ; =>This Inner Loop Header: Depth=1
	s_sleep 1
	global_store_dwordx2 v[6:7], v[4:5], off
	s_waitcnt vmcnt(0)
	global_atomic_cmpswap_x2 v[9:10], v8, v[2:5], s[6:7] offset:24 glc
	s_waitcnt vmcnt(0)
	v_cmp_eq_u64_e32 vcc, v[9:10], v[4:5]
	v_mov_b32_e32 v4, v9
	s_or_b64 s[4:5], vcc, s[4:5]
	v_mov_b32_e32 v5, v10
	s_andn2_b64 exec, exec, s[4:5]
	s_cbranch_execnz .LBB4_861
.LBB4_862:
	s_or_b64 exec, exec, s[20:21]
	s_getpc_b64 s[18:19]
	s_add_u32 s18, s18, .str.7@rel32@lo+4
	s_addc_u32 s19, s19, .str.7@rel32@hi+12
	s_cmp_lg_u64 s[18:19], 0
	s_cbranch_scc0 .LBB4_947
; %bb.863:
	s_waitcnt vmcnt(0)
	v_and_b32_e32 v33, 2, v0
	v_mov_b32_e32 v28, 0
	v_and_b32_e32 v2, -3, v0
	v_mov_b32_e32 v3, v1
	s_mov_b64 s[20:21], 4
	v_mov_b32_e32 v6, 2
	v_mov_b32_e32 v7, 1
	s_branch .LBB4_865
.LBB4_864:                              ;   in Loop: Header=BB4_865 Depth=1
	s_or_b64 exec, exec, s[26:27]
	s_sub_u32 s20, s20, s22
	s_subb_u32 s21, s21, s23
	s_add_u32 s18, s18, s22
	s_addc_u32 s19, s19, s23
	s_cmp_lg_u64 s[20:21], 0
	s_cbranch_scc0 .LBB4_946
.LBB4_865:                              ; =>This Loop Header: Depth=1
                                        ;     Child Loop BB4_868 Depth 2
                                        ;     Child Loop BB4_875 Depth 2
	;; [unrolled: 1-line block ×11, first 2 shown]
	v_cmp_lt_u64_e64 s[4:5], s[20:21], 56
	v_cmp_gt_u64_e64 s[24:25], s[20:21], 7
	s_and_b64 s[4:5], s[4:5], exec
	s_cselect_b32 s23, s21, 0
	s_cselect_b32 s22, s20, 56
	s_and_b64 vcc, exec, s[24:25]
	s_cbranch_vccnz .LBB4_870
; %bb.866:                              ;   in Loop: Header=BB4_865 Depth=1
	v_mov_b32_e32 v10, 0
	s_cmp_eq_u64 s[20:21], 0
	v_mov_b32_e32 v11, 0
	s_mov_b64 s[4:5], 0
	s_cbranch_scc1 .LBB4_869
; %bb.867:                              ;   in Loop: Header=BB4_865 Depth=1
	v_mov_b32_e32 v10, 0
	s_lshl_b64 s[24:25], s[22:23], 3
	s_mov_b64 s[26:27], 0
	v_mov_b32_e32 v11, 0
	s_mov_b64 s[28:29], s[18:19]
.LBB4_868:                              ;   Parent Loop BB4_865 Depth=1
                                        ; =>  This Inner Loop Header: Depth=2
	global_load_ubyte v4, v28, s[28:29]
	s_waitcnt vmcnt(0)
	v_and_b32_e32 v27, 0xffff, v4
	v_lshlrev_b64 v[4:5], s26, v[27:28]
	s_add_u32 s26, s26, 8
	s_addc_u32 s27, s27, 0
	s_add_u32 s28, s28, 1
	s_addc_u32 s29, s29, 0
	v_or_b32_e32 v10, v4, v10
	s_cmp_lg_u32 s24, s26
	v_or_b32_e32 v11, v5, v11
	s_cbranch_scc1 .LBB4_868
.LBB4_869:                              ;   in Loop: Header=BB4_865 Depth=1
	s_mov_b32 s15, 0
	s_andn2_b64 vcc, exec, s[4:5]
	s_mov_b64 s[4:5], s[18:19]
	s_cbranch_vccz .LBB4_871
	s_branch .LBB4_872
.LBB4_870:                              ;   in Loop: Header=BB4_865 Depth=1
                                        ; implicit-def: $vgpr10_vgpr11
                                        ; implicit-def: $sgpr15
	s_mov_b64 s[4:5], s[18:19]
.LBB4_871:                              ;   in Loop: Header=BB4_865 Depth=1
	global_load_dwordx2 v[10:11], v28, s[18:19]
	s_add_i32 s15, s22, -8
	s_add_u32 s4, s18, 8
	s_addc_u32 s5, s19, 0
.LBB4_872:                              ;   in Loop: Header=BB4_865 Depth=1
	s_cmp_gt_u32 s15, 7
	s_cbranch_scc1 .LBB4_876
; %bb.873:                              ;   in Loop: Header=BB4_865 Depth=1
	s_cmp_eq_u32 s15, 0
	s_cbranch_scc1 .LBB4_877
; %bb.874:                              ;   in Loop: Header=BB4_865 Depth=1
	v_mov_b32_e32 v12, 0
	s_mov_b64 s[24:25], 0
	v_mov_b32_e32 v13, 0
	s_mov_b64 s[26:27], 0
.LBB4_875:                              ;   Parent Loop BB4_865 Depth=1
                                        ; =>  This Inner Loop Header: Depth=2
	s_add_u32 s28, s4, s26
	s_addc_u32 s29, s5, s27
	global_load_ubyte v4, v28, s[28:29]
	s_add_u32 s26, s26, 1
	s_addc_u32 s27, s27, 0
	s_waitcnt vmcnt(0)
	v_and_b32_e32 v27, 0xffff, v4
	v_lshlrev_b64 v[4:5], s24, v[27:28]
	s_add_u32 s24, s24, 8
	s_addc_u32 s25, s25, 0
	v_or_b32_e32 v12, v4, v12
	s_cmp_lg_u32 s15, s26
	v_or_b32_e32 v13, v5, v13
	s_cbranch_scc1 .LBB4_875
	s_branch .LBB4_878
.LBB4_876:                              ;   in Loop: Header=BB4_865 Depth=1
                                        ; implicit-def: $vgpr12_vgpr13
                                        ; implicit-def: $sgpr28
	s_branch .LBB4_879
.LBB4_877:                              ;   in Loop: Header=BB4_865 Depth=1
	v_mov_b32_e32 v12, 0
	v_mov_b32_e32 v13, 0
.LBB4_878:                              ;   in Loop: Header=BB4_865 Depth=1
	s_mov_b32 s28, 0
	s_cbranch_execnz .LBB4_880
.LBB4_879:                              ;   in Loop: Header=BB4_865 Depth=1
	global_load_dwordx2 v[12:13], v28, s[4:5]
	s_add_i32 s28, s15, -8
	s_add_u32 s4, s4, 8
	s_addc_u32 s5, s5, 0
.LBB4_880:                              ;   in Loop: Header=BB4_865 Depth=1
	s_cmp_gt_u32 s28, 7
	s_cbranch_scc1 .LBB4_884
; %bb.881:                              ;   in Loop: Header=BB4_865 Depth=1
	s_cmp_eq_u32 s28, 0
	s_cbranch_scc1 .LBB4_885
; %bb.882:                              ;   in Loop: Header=BB4_865 Depth=1
	v_mov_b32_e32 v14, 0
	s_mov_b64 s[24:25], 0
	v_mov_b32_e32 v15, 0
	s_mov_b64 s[26:27], 0
.LBB4_883:                              ;   Parent Loop BB4_865 Depth=1
                                        ; =>  This Inner Loop Header: Depth=2
	s_add_u32 vcc_lo, s4, s26
	s_addc_u32 vcc_hi, s5, s27
	global_load_ubyte v4, v28, vcc
	s_add_u32 s26, s26, 1
	s_addc_u32 s27, s27, 0
	s_waitcnt vmcnt(0)
	v_and_b32_e32 v27, 0xffff, v4
	v_lshlrev_b64 v[4:5], s24, v[27:28]
	s_add_u32 s24, s24, 8
	s_addc_u32 s25, s25, 0
	v_or_b32_e32 v14, v4, v14
	s_cmp_lg_u32 s28, s26
	v_or_b32_e32 v15, v5, v15
	s_cbranch_scc1 .LBB4_883
	s_branch .LBB4_886
.LBB4_884:                              ;   in Loop: Header=BB4_865 Depth=1
                                        ; implicit-def: $sgpr15
	s_branch .LBB4_887
.LBB4_885:                              ;   in Loop: Header=BB4_865 Depth=1
	v_mov_b32_e32 v14, 0
	v_mov_b32_e32 v15, 0
.LBB4_886:                              ;   in Loop: Header=BB4_865 Depth=1
	s_mov_b32 s15, 0
	s_cbranch_execnz .LBB4_888
.LBB4_887:                              ;   in Loop: Header=BB4_865 Depth=1
	global_load_dwordx2 v[14:15], v28, s[4:5]
	s_add_i32 s15, s28, -8
	s_add_u32 s4, s4, 8
	s_addc_u32 s5, s5, 0
.LBB4_888:                              ;   in Loop: Header=BB4_865 Depth=1
	s_cmp_gt_u32 s15, 7
	s_cbranch_scc1 .LBB4_892
; %bb.889:                              ;   in Loop: Header=BB4_865 Depth=1
	s_cmp_eq_u32 s15, 0
	s_cbranch_scc1 .LBB4_893
; %bb.890:                              ;   in Loop: Header=BB4_865 Depth=1
	v_mov_b32_e32 v16, 0
	s_mov_b64 s[24:25], 0
	v_mov_b32_e32 v17, 0
	s_mov_b64 s[26:27], 0
.LBB4_891:                              ;   Parent Loop BB4_865 Depth=1
                                        ; =>  This Inner Loop Header: Depth=2
	s_add_u32 s28, s4, s26
	s_addc_u32 s29, s5, s27
	global_load_ubyte v4, v28, s[28:29]
	s_add_u32 s26, s26, 1
	s_addc_u32 s27, s27, 0
	s_waitcnt vmcnt(0)
	v_and_b32_e32 v27, 0xffff, v4
	v_lshlrev_b64 v[4:5], s24, v[27:28]
	s_add_u32 s24, s24, 8
	s_addc_u32 s25, s25, 0
	v_or_b32_e32 v16, v4, v16
	s_cmp_lg_u32 s15, s26
	v_or_b32_e32 v17, v5, v17
	s_cbranch_scc1 .LBB4_891
	s_branch .LBB4_894
.LBB4_892:                              ;   in Loop: Header=BB4_865 Depth=1
                                        ; implicit-def: $vgpr16_vgpr17
                                        ; implicit-def: $sgpr28
	s_branch .LBB4_895
.LBB4_893:                              ;   in Loop: Header=BB4_865 Depth=1
	v_mov_b32_e32 v16, 0
	v_mov_b32_e32 v17, 0
.LBB4_894:                              ;   in Loop: Header=BB4_865 Depth=1
	s_mov_b32 s28, 0
	s_cbranch_execnz .LBB4_896
.LBB4_895:                              ;   in Loop: Header=BB4_865 Depth=1
	global_load_dwordx2 v[16:17], v28, s[4:5]
	s_add_i32 s28, s15, -8
	s_add_u32 s4, s4, 8
	s_addc_u32 s5, s5, 0
.LBB4_896:                              ;   in Loop: Header=BB4_865 Depth=1
	s_cmp_gt_u32 s28, 7
	s_cbranch_scc1 .LBB4_900
; %bb.897:                              ;   in Loop: Header=BB4_865 Depth=1
	s_cmp_eq_u32 s28, 0
	s_cbranch_scc1 .LBB4_901
; %bb.898:                              ;   in Loop: Header=BB4_865 Depth=1
	v_mov_b32_e32 v18, 0
	s_mov_b64 s[24:25], 0
	v_mov_b32_e32 v19, 0
	s_mov_b64 s[26:27], 0
.LBB4_899:                              ;   Parent Loop BB4_865 Depth=1
                                        ; =>  This Inner Loop Header: Depth=2
	s_add_u32 vcc_lo, s4, s26
	s_addc_u32 vcc_hi, s5, s27
	global_load_ubyte v4, v28, vcc
	s_add_u32 s26, s26, 1
	s_addc_u32 s27, s27, 0
	s_waitcnt vmcnt(0)
	v_and_b32_e32 v27, 0xffff, v4
	v_lshlrev_b64 v[4:5], s24, v[27:28]
	s_add_u32 s24, s24, 8
	s_addc_u32 s25, s25, 0
	v_or_b32_e32 v18, v4, v18
	s_cmp_lg_u32 s28, s26
	v_or_b32_e32 v19, v5, v19
	s_cbranch_scc1 .LBB4_899
	s_branch .LBB4_902
.LBB4_900:                              ;   in Loop: Header=BB4_865 Depth=1
                                        ; implicit-def: $sgpr15
	s_branch .LBB4_903
.LBB4_901:                              ;   in Loop: Header=BB4_865 Depth=1
	v_mov_b32_e32 v18, 0
	v_mov_b32_e32 v19, 0
.LBB4_902:                              ;   in Loop: Header=BB4_865 Depth=1
	s_mov_b32 s15, 0
	s_cbranch_execnz .LBB4_904
.LBB4_903:                              ;   in Loop: Header=BB4_865 Depth=1
	global_load_dwordx2 v[18:19], v28, s[4:5]
	s_add_i32 s15, s28, -8
	s_add_u32 s4, s4, 8
	s_addc_u32 s5, s5, 0
.LBB4_904:                              ;   in Loop: Header=BB4_865 Depth=1
	s_cmp_gt_u32 s15, 7
	s_cbranch_scc1 .LBB4_908
; %bb.905:                              ;   in Loop: Header=BB4_865 Depth=1
	s_cmp_eq_u32 s15, 0
	s_cbranch_scc1 .LBB4_909
; %bb.906:                              ;   in Loop: Header=BB4_865 Depth=1
	v_mov_b32_e32 v20, 0
	s_mov_b64 s[24:25], 0
	v_mov_b32_e32 v21, 0
	s_mov_b64 s[26:27], 0
.LBB4_907:                              ;   Parent Loop BB4_865 Depth=1
                                        ; =>  This Inner Loop Header: Depth=2
	s_add_u32 s28, s4, s26
	s_addc_u32 s29, s5, s27
	global_load_ubyte v4, v28, s[28:29]
	s_add_u32 s26, s26, 1
	s_addc_u32 s27, s27, 0
	s_waitcnt vmcnt(0)
	v_and_b32_e32 v27, 0xffff, v4
	v_lshlrev_b64 v[4:5], s24, v[27:28]
	s_add_u32 s24, s24, 8
	s_addc_u32 s25, s25, 0
	v_or_b32_e32 v20, v4, v20
	s_cmp_lg_u32 s15, s26
	v_or_b32_e32 v21, v5, v21
	s_cbranch_scc1 .LBB4_907
	s_branch .LBB4_910
.LBB4_908:                              ;   in Loop: Header=BB4_865 Depth=1
                                        ; implicit-def: $vgpr20_vgpr21
                                        ; implicit-def: $sgpr28
	s_branch .LBB4_911
.LBB4_909:                              ;   in Loop: Header=BB4_865 Depth=1
	v_mov_b32_e32 v20, 0
	v_mov_b32_e32 v21, 0
.LBB4_910:                              ;   in Loop: Header=BB4_865 Depth=1
	s_mov_b32 s28, 0
	s_cbranch_execnz .LBB4_912
.LBB4_911:                              ;   in Loop: Header=BB4_865 Depth=1
	global_load_dwordx2 v[20:21], v28, s[4:5]
	s_add_i32 s28, s15, -8
	s_add_u32 s4, s4, 8
	s_addc_u32 s5, s5, 0
.LBB4_912:                              ;   in Loop: Header=BB4_865 Depth=1
	s_cmp_gt_u32 s28, 7
	s_cbranch_scc1 .LBB4_916
; %bb.913:                              ;   in Loop: Header=BB4_865 Depth=1
	s_cmp_eq_u32 s28, 0
	s_cbranch_scc1 .LBB4_917
; %bb.914:                              ;   in Loop: Header=BB4_865 Depth=1
	v_mov_b32_e32 v22, 0
	s_mov_b64 s[24:25], 0
	v_mov_b32_e32 v23, 0
	s_mov_b64 s[26:27], s[4:5]
.LBB4_915:                              ;   Parent Loop BB4_865 Depth=1
                                        ; =>  This Inner Loop Header: Depth=2
	global_load_ubyte v4, v28, s[26:27]
	s_add_i32 s28, s28, -1
	s_waitcnt vmcnt(0)
	v_and_b32_e32 v27, 0xffff, v4
	v_lshlrev_b64 v[4:5], s24, v[27:28]
	s_add_u32 s24, s24, 8
	s_addc_u32 s25, s25, 0
	s_add_u32 s26, s26, 1
	s_addc_u32 s27, s27, 0
	v_or_b32_e32 v22, v4, v22
	s_cmp_lg_u32 s28, 0
	v_or_b32_e32 v23, v5, v23
	s_cbranch_scc1 .LBB4_915
	s_branch .LBB4_918
.LBB4_916:                              ;   in Loop: Header=BB4_865 Depth=1
	s_branch .LBB4_919
.LBB4_917:                              ;   in Loop: Header=BB4_865 Depth=1
	v_mov_b32_e32 v22, 0
	v_mov_b32_e32 v23, 0
.LBB4_918:                              ;   in Loop: Header=BB4_865 Depth=1
	s_cbranch_execnz .LBB4_920
.LBB4_919:                              ;   in Loop: Header=BB4_865 Depth=1
	global_load_dwordx2 v[22:23], v28, s[4:5]
.LBB4_920:                              ;   in Loop: Header=BB4_865 Depth=1
	v_readfirstlane_b32 s4, v32
	s_waitcnt vmcnt(0)
	v_mov_b32_e32 v4, 0
	v_mov_b32_e32 v5, 0
	v_cmp_eq_u32_e64 s[4:5], s4, v32
	s_and_saveexec_b64 s[24:25], s[4:5]
	s_cbranch_execz .LBB4_926
; %bb.921:                              ;   in Loop: Header=BB4_865 Depth=1
	global_load_dwordx2 v[26:27], v28, s[6:7] offset:24 glc
	s_waitcnt vmcnt(0)
	buffer_wbinvl1_vol
	global_load_dwordx2 v[4:5], v28, s[6:7] offset:40
	global_load_dwordx2 v[8:9], v28, s[6:7]
	s_waitcnt vmcnt(1)
	v_and_b32_e32 v4, v4, v26
	v_and_b32_e32 v5, v5, v27
	v_mul_lo_u32 v5, v5, 24
	v_mul_hi_u32 v24, v4, 24
	v_mul_lo_u32 v4, v4, 24
	v_add_u32_e32 v5, v24, v5
	s_waitcnt vmcnt(0)
	v_add_co_u32_e32 v4, vcc, v8, v4
	v_addc_co_u32_e32 v5, vcc, v9, v5, vcc
	global_load_dwordx2 v[24:25], v[4:5], off glc
	s_waitcnt vmcnt(0)
	global_atomic_cmpswap_x2 v[4:5], v28, v[24:27], s[6:7] offset:24 glc
	s_waitcnt vmcnt(0)
	buffer_wbinvl1_vol
	v_cmp_ne_u64_e32 vcc, v[4:5], v[26:27]
	s_and_saveexec_b64 s[26:27], vcc
	s_cbranch_execz .LBB4_925
; %bb.922:                              ;   in Loop: Header=BB4_865 Depth=1
	s_mov_b64 s[28:29], 0
.LBB4_923:                              ;   Parent Loop BB4_865 Depth=1
                                        ; =>  This Inner Loop Header: Depth=2
	s_sleep 1
	global_load_dwordx2 v[8:9], v28, s[6:7] offset:40
	global_load_dwordx2 v[24:25], v28, s[6:7]
	v_mov_b32_e32 v27, v5
	v_mov_b32_e32 v26, v4
	s_waitcnt vmcnt(1)
	v_and_b32_e32 v4, v8, v26
	s_waitcnt vmcnt(0)
	v_mad_u64_u32 v[4:5], vcc, v4, 24, v[24:25]
	v_and_b32_e32 v8, v9, v27
	v_mad_u64_u32 v[8:9], vcc, v8, 24, v[5:6]
	v_mov_b32_e32 v5, v8
	global_load_dwordx2 v[24:25], v[4:5], off glc
	s_waitcnt vmcnt(0)
	global_atomic_cmpswap_x2 v[4:5], v28, v[24:27], s[6:7] offset:24 glc
	s_waitcnt vmcnt(0)
	buffer_wbinvl1_vol
	v_cmp_eq_u64_e32 vcc, v[4:5], v[26:27]
	s_or_b64 s[28:29], vcc, s[28:29]
	s_andn2_b64 exec, exec, s[28:29]
	s_cbranch_execnz .LBB4_923
; %bb.924:                              ;   in Loop: Header=BB4_865 Depth=1
	s_or_b64 exec, exec, s[28:29]
.LBB4_925:                              ;   in Loop: Header=BB4_865 Depth=1
	s_or_b64 exec, exec, s[26:27]
.LBB4_926:                              ;   in Loop: Header=BB4_865 Depth=1
	s_or_b64 exec, exec, s[24:25]
	global_load_dwordx2 v[8:9], v28, s[6:7] offset:40
	global_load_dwordx4 v[24:27], v28, s[6:7]
	v_readfirstlane_b32 s24, v4
	v_readfirstlane_b32 s25, v5
	s_mov_b64 s[26:27], exec
	s_waitcnt vmcnt(1)
	v_readfirstlane_b32 s28, v8
	v_readfirstlane_b32 s29, v9
	s_and_b64 s[28:29], s[24:25], s[28:29]
	s_mul_i32 s15, s29, 24
	s_mul_hi_u32 vcc_lo, s28, 24
	s_mul_i32 vcc_hi, s28, 24
	s_add_i32 s15, vcc_lo, s15
	v_mov_b32_e32 v4, s15
	s_waitcnt vmcnt(0)
	v_add_co_u32_e32 v29, vcc, vcc_hi, v24
	v_addc_co_u32_e32 v30, vcc, v25, v4, vcc
	s_and_saveexec_b64 vcc, s[4:5]
	s_cbranch_execz .LBB4_928
; %bb.927:                              ;   in Loop: Header=BB4_865 Depth=1
	v_mov_b32_e32 v4, s26
	v_mov_b32_e32 v5, s27
	global_store_dwordx4 v[29:30], v[4:7], off offset:8
.LBB4_928:                              ;   in Loop: Header=BB4_865 Depth=1
	s_or_b64 exec, exec, vcc
	s_lshl_b64 s[26:27], s[28:29], 12
	v_mov_b32_e32 v4, s27
	v_add_co_u32_e32 v26, vcc, s26, v26
	v_addc_co_u32_e32 v34, vcc, v27, v4, vcc
	v_cmp_gt_u64_e64 vcc, s[20:21], 56
	v_or_b32_e32 v5, v2, v33
	s_lshl_b32 s15, s22, 2
	v_cndmask_b32_e32 v2, v5, v2, vcc
	s_add_i32 s15, s15, 28
	v_or_b32_e32 v4, 0, v3
	s_and_b32 s15, s15, 0x1e0
	v_and_b32_e32 v2, 0xffffff1f, v2
	v_cndmask_b32_e32 v9, v4, v3, vcc
	v_or_b32_e32 v8, s15, v2
	v_readfirstlane_b32 s26, v26
	v_readfirstlane_b32 s27, v34
	s_nop 4
	global_store_dwordx4 v31, v[8:11], s[26:27]
	global_store_dwordx4 v31, v[12:15], s[26:27] offset:16
	global_store_dwordx4 v31, v[16:19], s[26:27] offset:32
	;; [unrolled: 1-line block ×3, first 2 shown]
	s_and_saveexec_b64 s[26:27], s[4:5]
	s_cbranch_execz .LBB4_936
; %bb.929:                              ;   in Loop: Header=BB4_865 Depth=1
	global_load_dwordx2 v[12:13], v28, s[6:7] offset:32 glc
	global_load_dwordx2 v[2:3], v28, s[6:7] offset:40
	v_mov_b32_e32 v10, s24
	v_mov_b32_e32 v11, s25
	s_waitcnt vmcnt(0)
	v_readfirstlane_b32 s28, v2
	v_readfirstlane_b32 s29, v3
	s_and_b64 s[28:29], s[28:29], s[24:25]
	s_mul_i32 s15, s29, 24
	s_mul_hi_u32 s29, s28, 24
	s_mul_i32 s28, s28, 24
	s_add_i32 s15, s29, s15
	v_mov_b32_e32 v2, s15
	v_add_co_u32_e32 v8, vcc, s28, v24
	v_addc_co_u32_e32 v9, vcc, v25, v2, vcc
	global_store_dwordx2 v[8:9], v[12:13], off
	s_waitcnt vmcnt(0)
	global_atomic_cmpswap_x2 v[4:5], v28, v[10:13], s[6:7] offset:32 glc
	s_waitcnt vmcnt(0)
	v_cmp_ne_u64_e32 vcc, v[4:5], v[12:13]
	s_and_saveexec_b64 s[28:29], vcc
	s_cbranch_execz .LBB4_932
; %bb.930:                              ;   in Loop: Header=BB4_865 Depth=1
	s_mov_b64 s[30:31], 0
.LBB4_931:                              ;   Parent Loop BB4_865 Depth=1
                                        ; =>  This Inner Loop Header: Depth=2
	s_sleep 1
	global_store_dwordx2 v[8:9], v[4:5], off
	v_mov_b32_e32 v2, s24
	v_mov_b32_e32 v3, s25
	s_waitcnt vmcnt(0)
	global_atomic_cmpswap_x2 v[2:3], v28, v[2:5], s[6:7] offset:32 glc
	s_waitcnt vmcnt(0)
	v_cmp_eq_u64_e32 vcc, v[2:3], v[4:5]
	v_mov_b32_e32 v5, v3
	s_or_b64 s[30:31], vcc, s[30:31]
	v_mov_b32_e32 v4, v2
	s_andn2_b64 exec, exec, s[30:31]
	s_cbranch_execnz .LBB4_931
.LBB4_932:                              ;   in Loop: Header=BB4_865 Depth=1
	s_or_b64 exec, exec, s[28:29]
	global_load_dwordx2 v[2:3], v28, s[6:7] offset:16
	s_mov_b64 s[30:31], exec
	v_mbcnt_lo_u32_b32 v4, s30, 0
	v_mbcnt_hi_u32_b32 v4, s31, v4
	v_cmp_eq_u32_e32 vcc, 0, v4
	s_and_saveexec_b64 s[28:29], vcc
	s_cbranch_execz .LBB4_934
; %bb.933:                              ;   in Loop: Header=BB4_865 Depth=1
	s_bcnt1_i32_b64 s15, s[30:31]
	v_mov_b32_e32 v27, s15
	s_waitcnt vmcnt(0)
	global_atomic_add_x2 v[2:3], v[27:28], off offset:8
.LBB4_934:                              ;   in Loop: Header=BB4_865 Depth=1
	s_or_b64 exec, exec, s[28:29]
	s_waitcnt vmcnt(0)
	global_load_dwordx2 v[4:5], v[2:3], off offset:16
	s_waitcnt vmcnt(0)
	v_cmp_eq_u64_e32 vcc, 0, v[4:5]
	s_cbranch_vccnz .LBB4_936
; %bb.935:                              ;   in Loop: Header=BB4_865 Depth=1
	global_load_dword v27, v[2:3], off offset:24
	s_waitcnt vmcnt(0)
	v_and_b32_e32 v2, 0xffffff, v27
	v_readfirstlane_b32 m0, v2
	global_store_dwordx2 v[4:5], v[27:28], off
	s_sendmsg sendmsg(MSG_INTERRUPT)
.LBB4_936:                              ;   in Loop: Header=BB4_865 Depth=1
	s_or_b64 exec, exec, s[26:27]
	v_add_co_u32_e32 v2, vcc, v26, v31
	v_addc_co_u32_e32 v3, vcc, 0, v34, vcc
	s_branch .LBB4_940
.LBB4_937:                              ;   in Loop: Header=BB4_940 Depth=2
	s_or_b64 exec, exec, s[26:27]
	v_readfirstlane_b32 s15, v4
	s_cmp_eq_u32 s15, 0
	s_cbranch_scc1 .LBB4_939
; %bb.938:                              ;   in Loop: Header=BB4_940 Depth=2
	s_sleep 1
	s_cbranch_execnz .LBB4_940
	s_branch .LBB4_942
.LBB4_939:                              ;   in Loop: Header=BB4_865 Depth=1
	s_branch .LBB4_942
.LBB4_940:                              ;   Parent Loop BB4_865 Depth=1
                                        ; =>  This Inner Loop Header: Depth=2
	v_mov_b32_e32 v4, 1
	s_and_saveexec_b64 s[26:27], s[4:5]
	s_cbranch_execz .LBB4_937
; %bb.941:                              ;   in Loop: Header=BB4_940 Depth=2
	global_load_dword v4, v[29:30], off offset:20 glc
	s_waitcnt vmcnt(0)
	buffer_wbinvl1_vol
	v_and_b32_e32 v4, 1, v4
	s_branch .LBB4_937
.LBB4_942:                              ;   in Loop: Header=BB4_865 Depth=1
	global_load_dwordx4 v[2:5], v[2:3], off
	s_and_saveexec_b64 s[26:27], s[4:5]
	s_cbranch_execz .LBB4_864
; %bb.943:                              ;   in Loop: Header=BB4_865 Depth=1
	global_load_dwordx2 v[4:5], v28, s[6:7] offset:40
	global_load_dwordx2 v[12:13], v28, s[6:7] offset:24 glc
	global_load_dwordx2 v[14:15], v28, s[6:7]
	v_mov_b32_e32 v9, s25
	s_waitcnt vmcnt(2)
	v_add_co_u32_e32 v10, vcc, 1, v4
	v_addc_co_u32_e32 v11, vcc, 0, v5, vcc
	v_add_co_u32_e32 v8, vcc, s24, v10
	v_addc_co_u32_e32 v9, vcc, v11, v9, vcc
	v_cmp_eq_u64_e32 vcc, 0, v[8:9]
	v_cndmask_b32_e32 v9, v9, v11, vcc
	v_cndmask_b32_e32 v8, v8, v10, vcc
	v_and_b32_e32 v5, v9, v5
	v_and_b32_e32 v4, v8, v4
	v_mul_lo_u32 v5, v5, 24
	v_mul_hi_u32 v11, v4, 24
	v_mul_lo_u32 v4, v4, 24
	s_waitcnt vmcnt(1)
	v_mov_b32_e32 v10, v12
	v_add_u32_e32 v5, v11, v5
	s_waitcnt vmcnt(0)
	v_add_co_u32_e32 v4, vcc, v14, v4
	v_addc_co_u32_e32 v5, vcc, v15, v5, vcc
	global_store_dwordx2 v[4:5], v[12:13], off
	v_mov_b32_e32 v11, v13
	s_waitcnt vmcnt(0)
	global_atomic_cmpswap_x2 v[10:11], v28, v[8:11], s[6:7] offset:24 glc
	s_waitcnt vmcnt(0)
	v_cmp_ne_u64_e32 vcc, v[10:11], v[12:13]
	s_and_b64 exec, exec, vcc
	s_cbranch_execz .LBB4_864
; %bb.944:                              ;   in Loop: Header=BB4_865 Depth=1
	s_mov_b64 s[4:5], 0
.LBB4_945:                              ;   Parent Loop BB4_865 Depth=1
                                        ; =>  This Inner Loop Header: Depth=2
	s_sleep 1
	global_store_dwordx2 v[4:5], v[10:11], off
	s_waitcnt vmcnt(0)
	global_atomic_cmpswap_x2 v[12:13], v28, v[8:11], s[6:7] offset:24 glc
	s_waitcnt vmcnt(0)
	v_cmp_eq_u64_e32 vcc, v[12:13], v[10:11]
	v_mov_b32_e32 v10, v12
	s_or_b64 s[4:5], vcc, s[4:5]
	v_mov_b32_e32 v11, v13
	s_andn2_b64 exec, exec, s[4:5]
	s_cbranch_execnz .LBB4_945
	s_branch .LBB4_864
.LBB4_946:
	s_branch .LBB4_974
.LBB4_947:
                                        ; implicit-def: $vgpr2_vgpr3
	s_cbranch_execz .LBB4_974
; %bb.948:
	v_readfirstlane_b32 s4, v32
	v_mov_b32_e32 v8, 0
	v_mov_b32_e32 v9, 0
	v_cmp_eq_u32_e64 s[4:5], s4, v32
	s_and_saveexec_b64 s[18:19], s[4:5]
	s_cbranch_execz .LBB4_954
; %bb.949:
	s_waitcnt vmcnt(0)
	v_mov_b32_e32 v2, 0
	global_load_dwordx2 v[5:6], v2, s[6:7] offset:24 glc
	s_waitcnt vmcnt(0)
	buffer_wbinvl1_vol
	global_load_dwordx2 v[3:4], v2, s[6:7] offset:40
	global_load_dwordx2 v[7:8], v2, s[6:7]
	s_waitcnt vmcnt(1)
	v_and_b32_e32 v3, v3, v5
	v_and_b32_e32 v4, v4, v6
	v_mul_lo_u32 v4, v4, 24
	v_mul_hi_u32 v9, v3, 24
	v_mul_lo_u32 v3, v3, 24
	v_add_u32_e32 v4, v9, v4
	s_waitcnt vmcnt(0)
	v_add_co_u32_e32 v3, vcc, v7, v3
	v_addc_co_u32_e32 v4, vcc, v8, v4, vcc
	global_load_dwordx2 v[3:4], v[3:4], off glc
	s_waitcnt vmcnt(0)
	global_atomic_cmpswap_x2 v[8:9], v2, v[3:6], s[6:7] offset:24 glc
	s_waitcnt vmcnt(0)
	buffer_wbinvl1_vol
	v_cmp_ne_u64_e32 vcc, v[8:9], v[5:6]
	s_and_saveexec_b64 s[20:21], vcc
	s_cbranch_execz .LBB4_953
; %bb.950:
	s_mov_b64 s[22:23], 0
.LBB4_951:                              ; =>This Inner Loop Header: Depth=1
	s_sleep 1
	global_load_dwordx2 v[3:4], v2, s[6:7] offset:40
	global_load_dwordx2 v[10:11], v2, s[6:7]
	v_mov_b32_e32 v5, v8
	v_mov_b32_e32 v6, v9
	s_waitcnt vmcnt(1)
	v_and_b32_e32 v3, v3, v5
	s_waitcnt vmcnt(0)
	v_mad_u64_u32 v[7:8], s[24:25], v3, 24, v[10:11]
	v_and_b32_e32 v4, v4, v6
	v_mov_b32_e32 v3, v8
	v_mad_u64_u32 v[3:4], s[24:25], v4, 24, v[3:4]
	v_mov_b32_e32 v8, v3
	global_load_dwordx2 v[3:4], v[7:8], off glc
	s_waitcnt vmcnt(0)
	global_atomic_cmpswap_x2 v[8:9], v2, v[3:6], s[6:7] offset:24 glc
	s_waitcnt vmcnt(0)
	buffer_wbinvl1_vol
	v_cmp_eq_u64_e32 vcc, v[8:9], v[5:6]
	s_or_b64 s[22:23], vcc, s[22:23]
	s_andn2_b64 exec, exec, s[22:23]
	s_cbranch_execnz .LBB4_951
; %bb.952:
	s_or_b64 exec, exec, s[22:23]
.LBB4_953:
	s_or_b64 exec, exec, s[20:21]
.LBB4_954:
	s_or_b64 exec, exec, s[18:19]
	s_waitcnt vmcnt(0)
	v_mov_b32_e32 v2, 0
	global_load_dwordx2 v[10:11], v2, s[6:7] offset:40
	global_load_dwordx4 v[4:7], v2, s[6:7]
	v_readfirstlane_b32 s18, v8
	v_readfirstlane_b32 s19, v9
	s_mov_b64 s[20:21], exec
	s_waitcnt vmcnt(1)
	v_readfirstlane_b32 s22, v10
	v_readfirstlane_b32 s23, v11
	s_and_b64 s[22:23], s[18:19], s[22:23]
	s_mul_i32 s15, s23, 24
	s_mul_hi_u32 s24, s22, 24
	s_mul_i32 s25, s22, 24
	s_add_i32 s15, s24, s15
	v_mov_b32_e32 v3, s15
	s_waitcnt vmcnt(0)
	v_add_co_u32_e32 v8, vcc, s25, v4
	v_addc_co_u32_e32 v9, vcc, v5, v3, vcc
	s_and_saveexec_b64 s[24:25], s[4:5]
	s_cbranch_execz .LBB4_956
; %bb.955:
	v_mov_b32_e32 v10, s20
	v_mov_b32_e32 v11, s21
	;; [unrolled: 1-line block ×4, first 2 shown]
	global_store_dwordx4 v[8:9], v[10:13], off offset:8
.LBB4_956:
	s_or_b64 exec, exec, s[24:25]
	s_lshl_b64 s[20:21], s[22:23], 12
	v_mov_b32_e32 v3, s21
	v_add_co_u32_e32 v10, vcc, s20, v6
	v_addc_co_u32_e32 v11, vcc, v7, v3, vcc
	s_movk_i32 s15, 0xff1f
	v_and_or_b32 v0, v0, s15, 32
	s_mov_b32 s20, 0
	v_mov_b32_e32 v3, v2
	v_readfirstlane_b32 s24, v10
	v_readfirstlane_b32 s25, v11
	v_add_co_u32_e32 v6, vcc, v10, v31
	s_mov_b32 s21, s20
	s_mov_b32 s22, s20
	;; [unrolled: 1-line block ×3, first 2 shown]
	s_nop 0
	global_store_dwordx4 v31, v[0:3], s[24:25]
	v_addc_co_u32_e32 v7, vcc, 0, v11, vcc
	v_mov_b32_e32 v0, s20
	v_mov_b32_e32 v1, s21
	;; [unrolled: 1-line block ×4, first 2 shown]
	global_store_dwordx4 v31, v[0:3], s[24:25] offset:16
	global_store_dwordx4 v31, v[0:3], s[24:25] offset:32
	;; [unrolled: 1-line block ×3, first 2 shown]
	s_and_saveexec_b64 s[20:21], s[4:5]
	s_cbranch_execz .LBB4_964
; %bb.957:
	v_mov_b32_e32 v10, 0
	global_load_dwordx2 v[13:14], v10, s[6:7] offset:32 glc
	global_load_dwordx2 v[0:1], v10, s[6:7] offset:40
	v_mov_b32_e32 v11, s18
	v_mov_b32_e32 v12, s19
	s_waitcnt vmcnt(0)
	v_readfirstlane_b32 s22, v0
	v_readfirstlane_b32 s23, v1
	s_and_b64 s[22:23], s[22:23], s[18:19]
	s_mul_i32 s15, s23, 24
	s_mul_hi_u32 s23, s22, 24
	s_mul_i32 s22, s22, 24
	s_add_i32 s15, s23, s15
	v_mov_b32_e32 v0, s15
	v_add_co_u32_e32 v4, vcc, s22, v4
	v_addc_co_u32_e32 v5, vcc, v5, v0, vcc
	global_store_dwordx2 v[4:5], v[13:14], off
	s_waitcnt vmcnt(0)
	global_atomic_cmpswap_x2 v[2:3], v10, v[11:14], s[6:7] offset:32 glc
	s_waitcnt vmcnt(0)
	v_cmp_ne_u64_e32 vcc, v[2:3], v[13:14]
	s_and_saveexec_b64 s[22:23], vcc
	s_cbranch_execz .LBB4_960
; %bb.958:
	s_mov_b64 s[24:25], 0
.LBB4_959:                              ; =>This Inner Loop Header: Depth=1
	s_sleep 1
	global_store_dwordx2 v[4:5], v[2:3], off
	v_mov_b32_e32 v0, s18
	v_mov_b32_e32 v1, s19
	s_waitcnt vmcnt(0)
	global_atomic_cmpswap_x2 v[0:1], v10, v[0:3], s[6:7] offset:32 glc
	s_waitcnt vmcnt(0)
	v_cmp_eq_u64_e32 vcc, v[0:1], v[2:3]
	v_mov_b32_e32 v3, v1
	s_or_b64 s[24:25], vcc, s[24:25]
	v_mov_b32_e32 v2, v0
	s_andn2_b64 exec, exec, s[24:25]
	s_cbranch_execnz .LBB4_959
.LBB4_960:
	s_or_b64 exec, exec, s[22:23]
	v_mov_b32_e32 v3, 0
	global_load_dwordx2 v[0:1], v3, s[6:7] offset:16
	s_mov_b64 s[22:23], exec
	v_mbcnt_lo_u32_b32 v2, s22, 0
	v_mbcnt_hi_u32_b32 v2, s23, v2
	v_cmp_eq_u32_e32 vcc, 0, v2
	s_and_saveexec_b64 s[24:25], vcc
	s_cbranch_execz .LBB4_962
; %bb.961:
	s_bcnt1_i32_b64 s15, s[22:23]
	v_mov_b32_e32 v2, s15
	s_waitcnt vmcnt(0)
	global_atomic_add_x2 v[0:1], v[2:3], off offset:8
.LBB4_962:
	s_or_b64 exec, exec, s[24:25]
	s_waitcnt vmcnt(0)
	global_load_dwordx2 v[2:3], v[0:1], off offset:16
	s_waitcnt vmcnt(0)
	v_cmp_eq_u64_e32 vcc, 0, v[2:3]
	s_cbranch_vccnz .LBB4_964
; %bb.963:
	global_load_dword v0, v[0:1], off offset:24
	v_mov_b32_e32 v1, 0
	s_waitcnt vmcnt(0)
	global_store_dwordx2 v[2:3], v[0:1], off
	v_and_b32_e32 v0, 0xffffff, v0
	v_readfirstlane_b32 m0, v0
	s_sendmsg sendmsg(MSG_INTERRUPT)
.LBB4_964:
	s_or_b64 exec, exec, s[20:21]
	s_branch .LBB4_968
.LBB4_965:                              ;   in Loop: Header=BB4_968 Depth=1
	s_or_b64 exec, exec, s[20:21]
	v_readfirstlane_b32 s15, v0
	s_cmp_eq_u32 s15, 0
	s_cbranch_scc1 .LBB4_967
; %bb.966:                              ;   in Loop: Header=BB4_968 Depth=1
	s_sleep 1
	s_cbranch_execnz .LBB4_968
	s_branch .LBB4_970
.LBB4_967:
	s_branch .LBB4_970
.LBB4_968:                              ; =>This Inner Loop Header: Depth=1
	v_mov_b32_e32 v0, 1
	s_and_saveexec_b64 s[20:21], s[4:5]
	s_cbranch_execz .LBB4_965
; %bb.969:                              ;   in Loop: Header=BB4_968 Depth=1
	global_load_dword v0, v[8:9], off offset:20 glc
	s_waitcnt vmcnt(0)
	buffer_wbinvl1_vol
	v_and_b32_e32 v0, 1, v0
	s_branch .LBB4_965
.LBB4_970:
	global_load_dwordx2 v[2:3], v[6:7], off
	s_and_saveexec_b64 s[20:21], s[4:5]
	s_cbranch_execz .LBB4_973
; %bb.971:
	v_mov_b32_e32 v8, 0
	global_load_dwordx2 v[0:1], v8, s[6:7] offset:40
	global_load_dwordx2 v[9:10], v8, s[6:7] offset:24 glc
	global_load_dwordx2 v[11:12], v8, s[6:7]
	v_mov_b32_e32 v5, s19
	s_mov_b64 s[4:5], 0
	s_waitcnt vmcnt(2)
	v_add_co_u32_e32 v6, vcc, 1, v0
	v_addc_co_u32_e32 v7, vcc, 0, v1, vcc
	v_add_co_u32_e32 v4, vcc, s18, v6
	v_addc_co_u32_e32 v5, vcc, v7, v5, vcc
	v_cmp_eq_u64_e32 vcc, 0, v[4:5]
	v_cndmask_b32_e32 v5, v5, v7, vcc
	v_cndmask_b32_e32 v4, v4, v6, vcc
	v_and_b32_e32 v1, v5, v1
	v_and_b32_e32 v0, v4, v0
	v_mul_lo_u32 v1, v1, 24
	v_mul_hi_u32 v7, v0, 24
	v_mul_lo_u32 v0, v0, 24
	s_waitcnt vmcnt(1)
	v_mov_b32_e32 v6, v9
	v_add_u32_e32 v1, v7, v1
	s_waitcnt vmcnt(0)
	v_add_co_u32_e32 v0, vcc, v11, v0
	v_addc_co_u32_e32 v1, vcc, v12, v1, vcc
	global_store_dwordx2 v[0:1], v[9:10], off
	v_mov_b32_e32 v7, v10
	s_waitcnt vmcnt(0)
	global_atomic_cmpswap_x2 v[6:7], v8, v[4:7], s[6:7] offset:24 glc
	s_waitcnt vmcnt(0)
	v_cmp_ne_u64_e32 vcc, v[6:7], v[9:10]
	s_and_b64 exec, exec, vcc
	s_cbranch_execz .LBB4_973
.LBB4_972:                              ; =>This Inner Loop Header: Depth=1
	s_sleep 1
	global_store_dwordx2 v[0:1], v[6:7], off
	s_waitcnt vmcnt(0)
	global_atomic_cmpswap_x2 v[9:10], v8, v[4:7], s[6:7] offset:24 glc
	s_waitcnt vmcnt(0)
	v_cmp_eq_u64_e32 vcc, v[9:10], v[6:7]
	v_mov_b32_e32 v6, v9
	s_or_b64 s[4:5], vcc, s[4:5]
	v_mov_b32_e32 v7, v10
	s_andn2_b64 exec, exec, s[4:5]
	s_cbranch_execnz .LBB4_972
.LBB4_973:
	s_or_b64 exec, exec, s[20:21]
.LBB4_974:
	v_readfirstlane_b32 s4, v32
	s_waitcnt vmcnt(0)
	v_mov_b32_e32 v0, 0
	v_mov_b32_e32 v1, 0
	v_cmp_eq_u32_e64 s[4:5], s4, v32
	s_and_saveexec_b64 s[18:19], s[4:5]
	s_cbranch_execz .LBB4_980
; %bb.975:
	v_mov_b32_e32 v4, 0
	global_load_dwordx2 v[7:8], v4, s[6:7] offset:24 glc
	s_waitcnt vmcnt(0)
	buffer_wbinvl1_vol
	global_load_dwordx2 v[0:1], v4, s[6:7] offset:40
	global_load_dwordx2 v[5:6], v4, s[6:7]
	s_waitcnt vmcnt(1)
	v_and_b32_e32 v0, v0, v7
	v_and_b32_e32 v1, v1, v8
	v_mul_lo_u32 v1, v1, 24
	v_mul_hi_u32 v9, v0, 24
	v_mul_lo_u32 v0, v0, 24
	v_add_u32_e32 v1, v9, v1
	s_waitcnt vmcnt(0)
	v_add_co_u32_e32 v0, vcc, v5, v0
	v_addc_co_u32_e32 v1, vcc, v6, v1, vcc
	global_load_dwordx2 v[5:6], v[0:1], off glc
	s_waitcnt vmcnt(0)
	global_atomic_cmpswap_x2 v[0:1], v4, v[5:8], s[6:7] offset:24 glc
	s_waitcnt vmcnt(0)
	buffer_wbinvl1_vol
	v_cmp_ne_u64_e32 vcc, v[0:1], v[7:8]
	s_and_saveexec_b64 s[20:21], vcc
	s_cbranch_execz .LBB4_979
; %bb.976:
	s_mov_b64 s[22:23], 0
.LBB4_977:                              ; =>This Inner Loop Header: Depth=1
	s_sleep 1
	global_load_dwordx2 v[5:6], v4, s[6:7] offset:40
	global_load_dwordx2 v[9:10], v4, s[6:7]
	v_mov_b32_e32 v8, v1
	v_mov_b32_e32 v7, v0
	s_waitcnt vmcnt(1)
	v_and_b32_e32 v0, v5, v7
	s_waitcnt vmcnt(0)
	v_mad_u64_u32 v[0:1], s[24:25], v0, 24, v[9:10]
	v_and_b32_e32 v5, v6, v8
	v_mad_u64_u32 v[5:6], s[24:25], v5, 24, v[1:2]
	v_mov_b32_e32 v1, v5
	global_load_dwordx2 v[5:6], v[0:1], off glc
	s_waitcnt vmcnt(0)
	global_atomic_cmpswap_x2 v[0:1], v4, v[5:8], s[6:7] offset:24 glc
	s_waitcnt vmcnt(0)
	buffer_wbinvl1_vol
	v_cmp_eq_u64_e32 vcc, v[0:1], v[7:8]
	s_or_b64 s[22:23], vcc, s[22:23]
	s_andn2_b64 exec, exec, s[22:23]
	s_cbranch_execnz .LBB4_977
; %bb.978:
	s_or_b64 exec, exec, s[22:23]
.LBB4_979:
	s_or_b64 exec, exec, s[20:21]
.LBB4_980:
	s_or_b64 exec, exec, s[18:19]
	v_mov_b32_e32 v5, 0
	global_load_dwordx2 v[10:11], v5, s[6:7] offset:40
	global_load_dwordx4 v[6:9], v5, s[6:7]
	v_readfirstlane_b32 s18, v0
	v_readfirstlane_b32 s19, v1
	s_mov_b64 s[20:21], exec
	s_waitcnt vmcnt(1)
	v_readfirstlane_b32 s22, v10
	v_readfirstlane_b32 s23, v11
	s_and_b64 s[22:23], s[18:19], s[22:23]
	s_mul_i32 s15, s23, 24
	s_mul_hi_u32 s24, s22, 24
	s_mul_i32 s25, s22, 24
	s_add_i32 s15, s24, s15
	v_mov_b32_e32 v0, s15
	s_waitcnt vmcnt(0)
	v_add_co_u32_e32 v10, vcc, s25, v6
	v_addc_co_u32_e32 v11, vcc, v7, v0, vcc
	s_and_saveexec_b64 s[24:25], s[4:5]
	s_cbranch_execz .LBB4_982
; %bb.981:
	v_mov_b32_e32 v12, s20
	v_mov_b32_e32 v13, s21
	;; [unrolled: 1-line block ×4, first 2 shown]
	global_store_dwordx4 v[10:11], v[12:15], off offset:8
.LBB4_982:
	s_or_b64 exec, exec, s[24:25]
	s_lshl_b64 s[20:21], s[22:23], 12
	v_mov_b32_e32 v0, s21
	v_add_co_u32_e32 v1, vcc, s20, v8
	v_addc_co_u32_e32 v0, vcc, v9, v0, vcc
	s_movk_i32 s15, 0xff1d
	v_and_or_b32 v2, v2, s15, 34
	s_mov_b32 s20, 0
	v_mov_b32_e32 v4, 0x3f5
	v_readfirstlane_b32 s24, v1
	v_readfirstlane_b32 s25, v0
	s_mov_b32 s21, s20
	s_mov_b32 s22, s20
	;; [unrolled: 1-line block ×3, first 2 shown]
	s_nop 1
	global_store_dwordx4 v31, v[2:5], s[24:25]
	v_mov_b32_e32 v0, s20
	v_mov_b32_e32 v1, s21
	;; [unrolled: 1-line block ×4, first 2 shown]
	global_store_dwordx4 v31, v[0:3], s[24:25] offset:16
	global_store_dwordx4 v31, v[0:3], s[24:25] offset:32
	;; [unrolled: 1-line block ×3, first 2 shown]
	s_and_saveexec_b64 s[20:21], s[4:5]
	s_cbranch_execz .LBB4_990
; %bb.983:
	v_mov_b32_e32 v8, 0
	global_load_dwordx2 v[14:15], v8, s[6:7] offset:32 glc
	global_load_dwordx2 v[0:1], v8, s[6:7] offset:40
	v_mov_b32_e32 v12, s18
	v_mov_b32_e32 v13, s19
	s_waitcnt vmcnt(0)
	v_readfirstlane_b32 s22, v0
	v_readfirstlane_b32 s23, v1
	s_and_b64 s[22:23], s[22:23], s[18:19]
	s_mul_i32 s15, s23, 24
	s_mul_hi_u32 s23, s22, 24
	s_mul_i32 s22, s22, 24
	s_add_i32 s15, s23, s15
	v_mov_b32_e32 v0, s15
	v_add_co_u32_e32 v4, vcc, s22, v6
	v_addc_co_u32_e32 v5, vcc, v7, v0, vcc
	global_store_dwordx2 v[4:5], v[14:15], off
	s_waitcnt vmcnt(0)
	global_atomic_cmpswap_x2 v[2:3], v8, v[12:15], s[6:7] offset:32 glc
	s_waitcnt vmcnt(0)
	v_cmp_ne_u64_e32 vcc, v[2:3], v[14:15]
	s_and_saveexec_b64 s[22:23], vcc
	s_cbranch_execz .LBB4_986
; %bb.984:
	s_mov_b64 s[24:25], 0
.LBB4_985:                              ; =>This Inner Loop Header: Depth=1
	s_sleep 1
	global_store_dwordx2 v[4:5], v[2:3], off
	v_mov_b32_e32 v0, s18
	v_mov_b32_e32 v1, s19
	s_waitcnt vmcnt(0)
	global_atomic_cmpswap_x2 v[0:1], v8, v[0:3], s[6:7] offset:32 glc
	s_waitcnt vmcnt(0)
	v_cmp_eq_u64_e32 vcc, v[0:1], v[2:3]
	v_mov_b32_e32 v3, v1
	s_or_b64 s[24:25], vcc, s[24:25]
	v_mov_b32_e32 v2, v0
	s_andn2_b64 exec, exec, s[24:25]
	s_cbranch_execnz .LBB4_985
.LBB4_986:
	s_or_b64 exec, exec, s[22:23]
	v_mov_b32_e32 v3, 0
	global_load_dwordx2 v[0:1], v3, s[6:7] offset:16
	s_mov_b64 s[22:23], exec
	v_mbcnt_lo_u32_b32 v2, s22, 0
	v_mbcnt_hi_u32_b32 v2, s23, v2
	v_cmp_eq_u32_e32 vcc, 0, v2
	s_and_saveexec_b64 s[24:25], vcc
	s_cbranch_execz .LBB4_988
; %bb.987:
	s_bcnt1_i32_b64 s15, s[22:23]
	v_mov_b32_e32 v2, s15
	s_waitcnt vmcnt(0)
	global_atomic_add_x2 v[0:1], v[2:3], off offset:8
.LBB4_988:
	s_or_b64 exec, exec, s[24:25]
	s_waitcnt vmcnt(0)
	global_load_dwordx2 v[2:3], v[0:1], off offset:16
	s_waitcnt vmcnt(0)
	v_cmp_eq_u64_e32 vcc, 0, v[2:3]
	s_cbranch_vccnz .LBB4_990
; %bb.989:
	global_load_dword v0, v[0:1], off offset:24
	v_mov_b32_e32 v1, 0
	s_waitcnt vmcnt(0)
	global_store_dwordx2 v[2:3], v[0:1], off
	v_and_b32_e32 v0, 0xffffff, v0
	v_readfirstlane_b32 m0, v0
	s_sendmsg sendmsg(MSG_INTERRUPT)
.LBB4_990:
	s_or_b64 exec, exec, s[20:21]
	s_branch .LBB4_994
.LBB4_991:                              ;   in Loop: Header=BB4_994 Depth=1
	s_or_b64 exec, exec, s[20:21]
	v_readfirstlane_b32 s15, v0
	s_cmp_eq_u32 s15, 0
	s_cbranch_scc1 .LBB4_993
; %bb.992:                              ;   in Loop: Header=BB4_994 Depth=1
	s_sleep 1
	s_cbranch_execnz .LBB4_994
	s_branch .LBB4_996
.LBB4_993:
	s_branch .LBB4_996
.LBB4_994:                              ; =>This Inner Loop Header: Depth=1
	v_mov_b32_e32 v0, 1
	s_and_saveexec_b64 s[20:21], s[4:5]
	s_cbranch_execz .LBB4_991
; %bb.995:                              ;   in Loop: Header=BB4_994 Depth=1
	global_load_dword v0, v[10:11], off offset:20 glc
	s_waitcnt vmcnt(0)
	buffer_wbinvl1_vol
	v_and_b32_e32 v0, 1, v0
	s_branch .LBB4_991
.LBB4_996:
	s_and_saveexec_b64 s[20:21], s[4:5]
	s_cbranch_execz .LBB4_999
; %bb.997:
	v_mov_b32_e32 v6, 0
	global_load_dwordx2 v[2:3], v6, s[6:7] offset:40
	global_load_dwordx2 v[7:8], v6, s[6:7] offset:24 glc
	global_load_dwordx2 v[4:5], v6, s[6:7]
	v_mov_b32_e32 v1, s19
	s_mov_b64 s[4:5], 0
	s_waitcnt vmcnt(2)
	v_add_co_u32_e32 v9, vcc, 1, v2
	v_addc_co_u32_e32 v10, vcc, 0, v3, vcc
	v_add_co_u32_e32 v0, vcc, s18, v9
	v_addc_co_u32_e32 v1, vcc, v10, v1, vcc
	v_cmp_eq_u64_e32 vcc, 0, v[0:1]
	v_cndmask_b32_e32 v1, v1, v10, vcc
	v_cndmask_b32_e32 v0, v0, v9, vcc
	v_and_b32_e32 v3, v1, v3
	v_and_b32_e32 v2, v0, v2
	v_mul_lo_u32 v3, v3, 24
	v_mul_hi_u32 v9, v2, 24
	v_mul_lo_u32 v10, v2, 24
	s_waitcnt vmcnt(1)
	v_mov_b32_e32 v2, v7
	v_add_u32_e32 v3, v9, v3
	s_waitcnt vmcnt(0)
	v_add_co_u32_e32 v4, vcc, v4, v10
	v_addc_co_u32_e32 v5, vcc, v5, v3, vcc
	global_store_dwordx2 v[4:5], v[7:8], off
	v_mov_b32_e32 v3, v8
	s_waitcnt vmcnt(0)
	global_atomic_cmpswap_x2 v[2:3], v6, v[0:3], s[6:7] offset:24 glc
	s_waitcnt vmcnt(0)
	v_cmp_ne_u64_e32 vcc, v[2:3], v[7:8]
	s_and_b64 exec, exec, vcc
	s_cbranch_execz .LBB4_999
.LBB4_998:                              ; =>This Inner Loop Header: Depth=1
	s_sleep 1
	global_store_dwordx2 v[4:5], v[2:3], off
	s_waitcnt vmcnt(0)
	global_atomic_cmpswap_x2 v[7:8], v6, v[0:3], s[6:7] offset:24 glc
	s_waitcnt vmcnt(0)
	v_cmp_eq_u64_e32 vcc, v[7:8], v[2:3]
	v_mov_b32_e32 v2, v7
	s_or_b64 s[4:5], vcc, s[4:5]
	v_mov_b32_e32 v3, v8
	s_andn2_b64 exec, exec, s[4:5]
	s_cbranch_execnz .LBB4_998
.LBB4_999:
	s_or_b64 exec, exec, s[20:21]
	v_readfirstlane_b32 s4, v32
	v_mov_b32_e32 v5, 0
	v_mov_b32_e32 v6, 0
	v_cmp_eq_u32_e64 s[4:5], s4, v32
	s_and_saveexec_b64 s[18:19], s[4:5]
	s_cbranch_execz .LBB4_1005
; %bb.1000:
	v_mov_b32_e32 v0, 0
	global_load_dwordx2 v[3:4], v0, s[6:7] offset:24 glc
	s_waitcnt vmcnt(0)
	buffer_wbinvl1_vol
	global_load_dwordx2 v[1:2], v0, s[6:7] offset:40
	global_load_dwordx2 v[5:6], v0, s[6:7]
	s_waitcnt vmcnt(1)
	v_and_b32_e32 v1, v1, v3
	v_and_b32_e32 v2, v2, v4
	v_mul_lo_u32 v2, v2, 24
	v_mul_hi_u32 v7, v1, 24
	v_mul_lo_u32 v1, v1, 24
	v_add_u32_e32 v2, v7, v2
	s_waitcnt vmcnt(0)
	v_add_co_u32_e32 v1, vcc, v5, v1
	v_addc_co_u32_e32 v2, vcc, v6, v2, vcc
	global_load_dwordx2 v[1:2], v[1:2], off glc
	s_waitcnt vmcnt(0)
	global_atomic_cmpswap_x2 v[5:6], v0, v[1:4], s[6:7] offset:24 glc
	s_waitcnt vmcnt(0)
	buffer_wbinvl1_vol
	v_cmp_ne_u64_e32 vcc, v[5:6], v[3:4]
	s_and_saveexec_b64 s[20:21], vcc
	s_cbranch_execz .LBB4_1004
; %bb.1001:
	s_mov_b64 s[22:23], 0
.LBB4_1002:                             ; =>This Inner Loop Header: Depth=1
	s_sleep 1
	global_load_dwordx2 v[1:2], v0, s[6:7] offset:40
	global_load_dwordx2 v[7:8], v0, s[6:7]
	v_mov_b32_e32 v3, v5
	v_mov_b32_e32 v4, v6
	s_waitcnt vmcnt(1)
	v_and_b32_e32 v1, v1, v3
	s_waitcnt vmcnt(0)
	v_mad_u64_u32 v[5:6], s[24:25], v1, 24, v[7:8]
	v_and_b32_e32 v2, v2, v4
	v_mov_b32_e32 v1, v6
	v_mad_u64_u32 v[1:2], s[24:25], v2, 24, v[1:2]
	v_mov_b32_e32 v6, v1
	global_load_dwordx2 v[1:2], v[5:6], off glc
	s_waitcnt vmcnt(0)
	global_atomic_cmpswap_x2 v[5:6], v0, v[1:4], s[6:7] offset:24 glc
	s_waitcnt vmcnt(0)
	buffer_wbinvl1_vol
	v_cmp_eq_u64_e32 vcc, v[5:6], v[3:4]
	s_or_b64 s[22:23], vcc, s[22:23]
	s_andn2_b64 exec, exec, s[22:23]
	s_cbranch_execnz .LBB4_1002
; %bb.1003:
	s_or_b64 exec, exec, s[22:23]
.LBB4_1004:
	s_or_b64 exec, exec, s[20:21]
.LBB4_1005:
	s_or_b64 exec, exec, s[18:19]
	v_mov_b32_e32 v4, 0
	global_load_dwordx2 v[7:8], v4, s[6:7] offset:40
	global_load_dwordx4 v[0:3], v4, s[6:7]
	v_readfirstlane_b32 s18, v5
	v_readfirstlane_b32 s19, v6
	s_mov_b64 s[20:21], exec
	s_waitcnt vmcnt(1)
	v_readfirstlane_b32 s22, v7
	v_readfirstlane_b32 s23, v8
	s_and_b64 s[22:23], s[18:19], s[22:23]
	s_mul_i32 s15, s23, 24
	s_mul_hi_u32 s24, s22, 24
	s_mul_i32 s25, s22, 24
	s_add_i32 s15, s24, s15
	v_mov_b32_e32 v5, s15
	s_waitcnt vmcnt(0)
	v_add_co_u32_e32 v7, vcc, s25, v0
	v_addc_co_u32_e32 v8, vcc, v1, v5, vcc
	s_and_saveexec_b64 s[24:25], s[4:5]
	s_cbranch_execz .LBB4_1007
; %bb.1006:
	v_mov_b32_e32 v9, s20
	v_mov_b32_e32 v10, s21
	;; [unrolled: 1-line block ×4, first 2 shown]
	global_store_dwordx4 v[7:8], v[9:12], off offset:8
.LBB4_1007:
	s_or_b64 exec, exec, s[24:25]
	s_lshl_b64 s[20:21], s[22:23], 12
	v_mov_b32_e32 v5, s21
	v_add_co_u32_e32 v2, vcc, s20, v2
	v_addc_co_u32_e32 v11, vcc, v3, v5, vcc
	s_mov_b32 s20, 0
	v_mov_b32_e32 v3, 33
	v_mov_b32_e32 v5, v4
	;; [unrolled: 1-line block ×3, first 2 shown]
	v_readfirstlane_b32 s24, v2
	v_readfirstlane_b32 s25, v11
	v_add_co_u32_e32 v9, vcc, v2, v31
	s_mov_b32 s21, s20
	s_mov_b32 s22, s20
	;; [unrolled: 1-line block ×3, first 2 shown]
	s_nop 0
	global_store_dwordx4 v31, v[3:6], s[24:25]
	v_mov_b32_e32 v2, s20
	v_addc_co_u32_e32 v10, vcc, 0, v11, vcc
	v_mov_b32_e32 v3, s21
	v_mov_b32_e32 v4, s22
	;; [unrolled: 1-line block ×3, first 2 shown]
	global_store_dwordx4 v31, v[2:5], s[24:25] offset:16
	global_store_dwordx4 v31, v[2:5], s[24:25] offset:32
	;; [unrolled: 1-line block ×3, first 2 shown]
	s_and_saveexec_b64 s[20:21], s[4:5]
	s_cbranch_execz .LBB4_1015
; %bb.1008:
	v_mov_b32_e32 v6, 0
	global_load_dwordx2 v[13:14], v6, s[6:7] offset:32 glc
	global_load_dwordx2 v[2:3], v6, s[6:7] offset:40
	v_mov_b32_e32 v11, s18
	v_mov_b32_e32 v12, s19
	s_waitcnt vmcnt(0)
	v_readfirstlane_b32 s22, v2
	v_readfirstlane_b32 s23, v3
	s_and_b64 s[22:23], s[22:23], s[18:19]
	s_mul_i32 s15, s23, 24
	s_mul_hi_u32 s23, s22, 24
	s_mul_i32 s22, s22, 24
	s_add_i32 s15, s23, s15
	v_mov_b32_e32 v2, s15
	v_add_co_u32_e32 v4, vcc, s22, v0
	v_addc_co_u32_e32 v5, vcc, v1, v2, vcc
	global_store_dwordx2 v[4:5], v[13:14], off
	s_waitcnt vmcnt(0)
	global_atomic_cmpswap_x2 v[2:3], v6, v[11:14], s[6:7] offset:32 glc
	s_waitcnt vmcnt(0)
	v_cmp_ne_u64_e32 vcc, v[2:3], v[13:14]
	s_and_saveexec_b64 s[22:23], vcc
	s_cbranch_execz .LBB4_1011
; %bb.1009:
	s_mov_b64 s[24:25], 0
.LBB4_1010:                             ; =>This Inner Loop Header: Depth=1
	s_sleep 1
	global_store_dwordx2 v[4:5], v[2:3], off
	v_mov_b32_e32 v0, s18
	v_mov_b32_e32 v1, s19
	s_waitcnt vmcnt(0)
	global_atomic_cmpswap_x2 v[0:1], v6, v[0:3], s[6:7] offset:32 glc
	s_waitcnt vmcnt(0)
	v_cmp_eq_u64_e32 vcc, v[0:1], v[2:3]
	v_mov_b32_e32 v3, v1
	s_or_b64 s[24:25], vcc, s[24:25]
	v_mov_b32_e32 v2, v0
	s_andn2_b64 exec, exec, s[24:25]
	s_cbranch_execnz .LBB4_1010
.LBB4_1011:
	s_or_b64 exec, exec, s[22:23]
	v_mov_b32_e32 v3, 0
	global_load_dwordx2 v[0:1], v3, s[6:7] offset:16
	s_mov_b64 s[22:23], exec
	v_mbcnt_lo_u32_b32 v2, s22, 0
	v_mbcnt_hi_u32_b32 v2, s23, v2
	v_cmp_eq_u32_e32 vcc, 0, v2
	s_and_saveexec_b64 s[24:25], vcc
	s_cbranch_execz .LBB4_1013
; %bb.1012:
	s_bcnt1_i32_b64 s15, s[22:23]
	v_mov_b32_e32 v2, s15
	s_waitcnt vmcnt(0)
	global_atomic_add_x2 v[0:1], v[2:3], off offset:8
.LBB4_1013:
	s_or_b64 exec, exec, s[24:25]
	s_waitcnt vmcnt(0)
	global_load_dwordx2 v[2:3], v[0:1], off offset:16
	s_waitcnt vmcnt(0)
	v_cmp_eq_u64_e32 vcc, 0, v[2:3]
	s_cbranch_vccnz .LBB4_1015
; %bb.1014:
	global_load_dword v0, v[0:1], off offset:24
	v_mov_b32_e32 v1, 0
	s_waitcnt vmcnt(0)
	global_store_dwordx2 v[2:3], v[0:1], off
	v_and_b32_e32 v0, 0xffffff, v0
	v_readfirstlane_b32 m0, v0
	s_sendmsg sendmsg(MSG_INTERRUPT)
.LBB4_1015:
	s_or_b64 exec, exec, s[20:21]
	s_branch .LBB4_1019
.LBB4_1016:                             ;   in Loop: Header=BB4_1019 Depth=1
	s_or_b64 exec, exec, s[20:21]
	v_readfirstlane_b32 s15, v0
	s_cmp_eq_u32 s15, 0
	s_cbranch_scc1 .LBB4_1018
; %bb.1017:                             ;   in Loop: Header=BB4_1019 Depth=1
	s_sleep 1
	s_cbranch_execnz .LBB4_1019
	s_branch .LBB4_1021
.LBB4_1018:
	s_branch .LBB4_1021
.LBB4_1019:                             ; =>This Inner Loop Header: Depth=1
	v_mov_b32_e32 v0, 1
	s_and_saveexec_b64 s[20:21], s[4:5]
	s_cbranch_execz .LBB4_1016
; %bb.1020:                             ;   in Loop: Header=BB4_1019 Depth=1
	global_load_dword v0, v[7:8], off offset:20 glc
	s_waitcnt vmcnt(0)
	buffer_wbinvl1_vol
	v_and_b32_e32 v0, 1, v0
	s_branch .LBB4_1016
.LBB4_1021:
	global_load_dwordx2 v[0:1], v[9:10], off
	s_and_saveexec_b64 s[20:21], s[4:5]
	s_cbranch_execz .LBB4_1024
; %bb.1022:
	v_mov_b32_e32 v8, 0
	global_load_dwordx2 v[4:5], v8, s[6:7] offset:40
	global_load_dwordx2 v[9:10], v8, s[6:7] offset:24 glc
	global_load_dwordx2 v[6:7], v8, s[6:7]
	v_mov_b32_e32 v3, s19
	s_mov_b64 s[4:5], 0
	s_waitcnt vmcnt(2)
	v_add_co_u32_e32 v11, vcc, 1, v4
	v_addc_co_u32_e32 v12, vcc, 0, v5, vcc
	v_add_co_u32_e32 v2, vcc, s18, v11
	v_addc_co_u32_e32 v3, vcc, v12, v3, vcc
	v_cmp_eq_u64_e32 vcc, 0, v[2:3]
	v_cndmask_b32_e32 v3, v3, v12, vcc
	v_cndmask_b32_e32 v2, v2, v11, vcc
	v_and_b32_e32 v5, v3, v5
	v_and_b32_e32 v4, v2, v4
	v_mul_lo_u32 v5, v5, 24
	v_mul_hi_u32 v11, v4, 24
	v_mul_lo_u32 v12, v4, 24
	s_waitcnt vmcnt(1)
	v_mov_b32_e32 v4, v9
	v_add_u32_e32 v5, v11, v5
	s_waitcnt vmcnt(0)
	v_add_co_u32_e32 v6, vcc, v6, v12
	v_addc_co_u32_e32 v7, vcc, v7, v5, vcc
	global_store_dwordx2 v[6:7], v[9:10], off
	v_mov_b32_e32 v5, v10
	s_waitcnt vmcnt(0)
	global_atomic_cmpswap_x2 v[4:5], v8, v[2:5], s[6:7] offset:24 glc
	s_waitcnt vmcnt(0)
	v_cmp_ne_u64_e32 vcc, v[4:5], v[9:10]
	s_and_b64 exec, exec, vcc
	s_cbranch_execz .LBB4_1024
.LBB4_1023:                             ; =>This Inner Loop Header: Depth=1
	s_sleep 1
	global_store_dwordx2 v[6:7], v[4:5], off
	s_waitcnt vmcnt(0)
	global_atomic_cmpswap_x2 v[9:10], v8, v[2:5], s[6:7] offset:24 glc
	s_waitcnt vmcnt(0)
	v_cmp_eq_u64_e32 vcc, v[9:10], v[4:5]
	v_mov_b32_e32 v4, v9
	s_or_b64 s[4:5], vcc, s[4:5]
	v_mov_b32_e32 v5, v10
	s_andn2_b64 exec, exec, s[4:5]
	s_cbranch_execnz .LBB4_1023
.LBB4_1024:
	s_or_b64 exec, exec, s[20:21]
	s_and_b64 vcc, exec, s[16:17]
	s_cbranch_vccz .LBB4_1109
; %bb.1025:
	s_waitcnt vmcnt(0)
	v_and_b32_e32 v33, 2, v0
	v_mov_b32_e32 v28, 0
	v_and_b32_e32 v2, -3, v0
	v_mov_b32_e32 v3, v1
	s_mov_b64 s[20:21], 3
	v_mov_b32_e32 v6, 2
	v_mov_b32_e32 v7, 1
	s_getpc_b64 s[18:19]
	s_add_u32 s18, s18, .str.6@rel32@lo+4
	s_addc_u32 s19, s19, .str.6@rel32@hi+12
	s_branch .LBB4_1027
.LBB4_1026:                             ;   in Loop: Header=BB4_1027 Depth=1
	s_or_b64 exec, exec, s[26:27]
	s_sub_u32 s20, s20, s22
	s_subb_u32 s21, s21, s23
	s_add_u32 s18, s18, s22
	s_addc_u32 s19, s19, s23
	s_cmp_lg_u64 s[20:21], 0
	s_cbranch_scc0 .LBB4_1108
.LBB4_1027:                             ; =>This Loop Header: Depth=1
                                        ;     Child Loop BB4_1030 Depth 2
                                        ;     Child Loop BB4_1037 Depth 2
	;; [unrolled: 1-line block ×11, first 2 shown]
	v_cmp_lt_u64_e64 s[4:5], s[20:21], 56
	v_cmp_gt_u64_e64 s[24:25], s[20:21], 7
	s_and_b64 s[4:5], s[4:5], exec
	s_cselect_b32 s23, s21, 0
	s_cselect_b32 s22, s20, 56
	s_and_b64 vcc, exec, s[24:25]
	s_cbranch_vccnz .LBB4_1032
; %bb.1028:                             ;   in Loop: Header=BB4_1027 Depth=1
	v_mov_b32_e32 v10, 0
	s_cmp_eq_u64 s[20:21], 0
	v_mov_b32_e32 v11, 0
	s_mov_b64 s[4:5], 0
	s_cbranch_scc1 .LBB4_1031
; %bb.1029:                             ;   in Loop: Header=BB4_1027 Depth=1
	v_mov_b32_e32 v10, 0
	s_lshl_b64 s[24:25], s[22:23], 3
	s_mov_b64 s[26:27], 0
	v_mov_b32_e32 v11, 0
	s_mov_b64 s[28:29], s[18:19]
.LBB4_1030:                             ;   Parent Loop BB4_1027 Depth=1
                                        ; =>  This Inner Loop Header: Depth=2
	global_load_ubyte v4, v28, s[28:29]
	s_waitcnt vmcnt(0)
	v_and_b32_e32 v27, 0xffff, v4
	v_lshlrev_b64 v[4:5], s26, v[27:28]
	s_add_u32 s26, s26, 8
	s_addc_u32 s27, s27, 0
	s_add_u32 s28, s28, 1
	s_addc_u32 s29, s29, 0
	v_or_b32_e32 v10, v4, v10
	s_cmp_lg_u32 s24, s26
	v_or_b32_e32 v11, v5, v11
	s_cbranch_scc1 .LBB4_1030
.LBB4_1031:                             ;   in Loop: Header=BB4_1027 Depth=1
	s_mov_b32 s15, 0
	s_andn2_b64 vcc, exec, s[4:5]
	s_mov_b64 s[4:5], s[18:19]
	s_cbranch_vccz .LBB4_1033
	s_branch .LBB4_1034
.LBB4_1032:                             ;   in Loop: Header=BB4_1027 Depth=1
                                        ; implicit-def: $vgpr10_vgpr11
                                        ; implicit-def: $sgpr15
	s_mov_b64 s[4:5], s[18:19]
.LBB4_1033:                             ;   in Loop: Header=BB4_1027 Depth=1
	global_load_dwordx2 v[10:11], v28, s[18:19]
	s_add_i32 s15, s22, -8
	s_add_u32 s4, s18, 8
	s_addc_u32 s5, s19, 0
.LBB4_1034:                             ;   in Loop: Header=BB4_1027 Depth=1
	s_cmp_gt_u32 s15, 7
	s_cbranch_scc1 .LBB4_1038
; %bb.1035:                             ;   in Loop: Header=BB4_1027 Depth=1
	s_cmp_eq_u32 s15, 0
	s_cbranch_scc1 .LBB4_1039
; %bb.1036:                             ;   in Loop: Header=BB4_1027 Depth=1
	v_mov_b32_e32 v12, 0
	s_mov_b64 s[24:25], 0
	v_mov_b32_e32 v13, 0
	s_mov_b64 s[26:27], 0
.LBB4_1037:                             ;   Parent Loop BB4_1027 Depth=1
                                        ; =>  This Inner Loop Header: Depth=2
	s_add_u32 s28, s4, s26
	s_addc_u32 s29, s5, s27
	global_load_ubyte v4, v28, s[28:29]
	s_add_u32 s26, s26, 1
	s_addc_u32 s27, s27, 0
	s_waitcnt vmcnt(0)
	v_and_b32_e32 v27, 0xffff, v4
	v_lshlrev_b64 v[4:5], s24, v[27:28]
	s_add_u32 s24, s24, 8
	s_addc_u32 s25, s25, 0
	v_or_b32_e32 v12, v4, v12
	s_cmp_lg_u32 s15, s26
	v_or_b32_e32 v13, v5, v13
	s_cbranch_scc1 .LBB4_1037
	s_branch .LBB4_1040
.LBB4_1038:                             ;   in Loop: Header=BB4_1027 Depth=1
                                        ; implicit-def: $vgpr12_vgpr13
                                        ; implicit-def: $sgpr28
	s_branch .LBB4_1041
.LBB4_1039:                             ;   in Loop: Header=BB4_1027 Depth=1
	v_mov_b32_e32 v12, 0
	v_mov_b32_e32 v13, 0
.LBB4_1040:                             ;   in Loop: Header=BB4_1027 Depth=1
	s_mov_b32 s28, 0
	s_cbranch_execnz .LBB4_1042
.LBB4_1041:                             ;   in Loop: Header=BB4_1027 Depth=1
	global_load_dwordx2 v[12:13], v28, s[4:5]
	s_add_i32 s28, s15, -8
	s_add_u32 s4, s4, 8
	s_addc_u32 s5, s5, 0
.LBB4_1042:                             ;   in Loop: Header=BB4_1027 Depth=1
	s_cmp_gt_u32 s28, 7
	s_cbranch_scc1 .LBB4_1046
; %bb.1043:                             ;   in Loop: Header=BB4_1027 Depth=1
	s_cmp_eq_u32 s28, 0
	s_cbranch_scc1 .LBB4_1047
; %bb.1044:                             ;   in Loop: Header=BB4_1027 Depth=1
	v_mov_b32_e32 v14, 0
	s_mov_b64 s[24:25], 0
	v_mov_b32_e32 v15, 0
	s_mov_b64 s[26:27], 0
.LBB4_1045:                             ;   Parent Loop BB4_1027 Depth=1
                                        ; =>  This Inner Loop Header: Depth=2
	s_add_u32 vcc_lo, s4, s26
	s_addc_u32 vcc_hi, s5, s27
	global_load_ubyte v4, v28, vcc
	s_add_u32 s26, s26, 1
	s_addc_u32 s27, s27, 0
	s_waitcnt vmcnt(0)
	v_and_b32_e32 v27, 0xffff, v4
	v_lshlrev_b64 v[4:5], s24, v[27:28]
	s_add_u32 s24, s24, 8
	s_addc_u32 s25, s25, 0
	v_or_b32_e32 v14, v4, v14
	s_cmp_lg_u32 s28, s26
	v_or_b32_e32 v15, v5, v15
	s_cbranch_scc1 .LBB4_1045
	s_branch .LBB4_1048
.LBB4_1046:                             ;   in Loop: Header=BB4_1027 Depth=1
                                        ; implicit-def: $sgpr15
	s_branch .LBB4_1049
.LBB4_1047:                             ;   in Loop: Header=BB4_1027 Depth=1
	v_mov_b32_e32 v14, 0
	v_mov_b32_e32 v15, 0
.LBB4_1048:                             ;   in Loop: Header=BB4_1027 Depth=1
	s_mov_b32 s15, 0
	s_cbranch_execnz .LBB4_1050
.LBB4_1049:                             ;   in Loop: Header=BB4_1027 Depth=1
	global_load_dwordx2 v[14:15], v28, s[4:5]
	s_add_i32 s15, s28, -8
	s_add_u32 s4, s4, 8
	s_addc_u32 s5, s5, 0
.LBB4_1050:                             ;   in Loop: Header=BB4_1027 Depth=1
	s_cmp_gt_u32 s15, 7
	s_cbranch_scc1 .LBB4_1054
; %bb.1051:                             ;   in Loop: Header=BB4_1027 Depth=1
	s_cmp_eq_u32 s15, 0
	s_cbranch_scc1 .LBB4_1055
; %bb.1052:                             ;   in Loop: Header=BB4_1027 Depth=1
	v_mov_b32_e32 v16, 0
	s_mov_b64 s[24:25], 0
	v_mov_b32_e32 v17, 0
	s_mov_b64 s[26:27], 0
.LBB4_1053:                             ;   Parent Loop BB4_1027 Depth=1
                                        ; =>  This Inner Loop Header: Depth=2
	s_add_u32 s28, s4, s26
	s_addc_u32 s29, s5, s27
	global_load_ubyte v4, v28, s[28:29]
	s_add_u32 s26, s26, 1
	s_addc_u32 s27, s27, 0
	s_waitcnt vmcnt(0)
	v_and_b32_e32 v27, 0xffff, v4
	v_lshlrev_b64 v[4:5], s24, v[27:28]
	s_add_u32 s24, s24, 8
	s_addc_u32 s25, s25, 0
	v_or_b32_e32 v16, v4, v16
	s_cmp_lg_u32 s15, s26
	v_or_b32_e32 v17, v5, v17
	s_cbranch_scc1 .LBB4_1053
	s_branch .LBB4_1056
.LBB4_1054:                             ;   in Loop: Header=BB4_1027 Depth=1
                                        ; implicit-def: $vgpr16_vgpr17
                                        ; implicit-def: $sgpr28
	s_branch .LBB4_1057
.LBB4_1055:                             ;   in Loop: Header=BB4_1027 Depth=1
	v_mov_b32_e32 v16, 0
	v_mov_b32_e32 v17, 0
.LBB4_1056:                             ;   in Loop: Header=BB4_1027 Depth=1
	s_mov_b32 s28, 0
	s_cbranch_execnz .LBB4_1058
.LBB4_1057:                             ;   in Loop: Header=BB4_1027 Depth=1
	global_load_dwordx2 v[16:17], v28, s[4:5]
	s_add_i32 s28, s15, -8
	s_add_u32 s4, s4, 8
	s_addc_u32 s5, s5, 0
.LBB4_1058:                             ;   in Loop: Header=BB4_1027 Depth=1
	s_cmp_gt_u32 s28, 7
	s_cbranch_scc1 .LBB4_1062
; %bb.1059:                             ;   in Loop: Header=BB4_1027 Depth=1
	s_cmp_eq_u32 s28, 0
	s_cbranch_scc1 .LBB4_1063
; %bb.1060:                             ;   in Loop: Header=BB4_1027 Depth=1
	v_mov_b32_e32 v18, 0
	s_mov_b64 s[24:25], 0
	v_mov_b32_e32 v19, 0
	s_mov_b64 s[26:27], 0
.LBB4_1061:                             ;   Parent Loop BB4_1027 Depth=1
                                        ; =>  This Inner Loop Header: Depth=2
	s_add_u32 vcc_lo, s4, s26
	s_addc_u32 vcc_hi, s5, s27
	global_load_ubyte v4, v28, vcc
	s_add_u32 s26, s26, 1
	s_addc_u32 s27, s27, 0
	s_waitcnt vmcnt(0)
	v_and_b32_e32 v27, 0xffff, v4
	v_lshlrev_b64 v[4:5], s24, v[27:28]
	s_add_u32 s24, s24, 8
	s_addc_u32 s25, s25, 0
	v_or_b32_e32 v18, v4, v18
	s_cmp_lg_u32 s28, s26
	v_or_b32_e32 v19, v5, v19
	s_cbranch_scc1 .LBB4_1061
	s_branch .LBB4_1064
.LBB4_1062:                             ;   in Loop: Header=BB4_1027 Depth=1
                                        ; implicit-def: $sgpr15
	s_branch .LBB4_1065
.LBB4_1063:                             ;   in Loop: Header=BB4_1027 Depth=1
	v_mov_b32_e32 v18, 0
	v_mov_b32_e32 v19, 0
.LBB4_1064:                             ;   in Loop: Header=BB4_1027 Depth=1
	s_mov_b32 s15, 0
	s_cbranch_execnz .LBB4_1066
.LBB4_1065:                             ;   in Loop: Header=BB4_1027 Depth=1
	global_load_dwordx2 v[18:19], v28, s[4:5]
	s_add_i32 s15, s28, -8
	s_add_u32 s4, s4, 8
	s_addc_u32 s5, s5, 0
.LBB4_1066:                             ;   in Loop: Header=BB4_1027 Depth=1
	s_cmp_gt_u32 s15, 7
	s_cbranch_scc1 .LBB4_1070
; %bb.1067:                             ;   in Loop: Header=BB4_1027 Depth=1
	s_cmp_eq_u32 s15, 0
	s_cbranch_scc1 .LBB4_1071
; %bb.1068:                             ;   in Loop: Header=BB4_1027 Depth=1
	v_mov_b32_e32 v20, 0
	s_mov_b64 s[24:25], 0
	v_mov_b32_e32 v21, 0
	s_mov_b64 s[26:27], 0
.LBB4_1069:                             ;   Parent Loop BB4_1027 Depth=1
                                        ; =>  This Inner Loop Header: Depth=2
	s_add_u32 s28, s4, s26
	s_addc_u32 s29, s5, s27
	global_load_ubyte v4, v28, s[28:29]
	s_add_u32 s26, s26, 1
	s_addc_u32 s27, s27, 0
	s_waitcnt vmcnt(0)
	v_and_b32_e32 v27, 0xffff, v4
	v_lshlrev_b64 v[4:5], s24, v[27:28]
	s_add_u32 s24, s24, 8
	s_addc_u32 s25, s25, 0
	v_or_b32_e32 v20, v4, v20
	s_cmp_lg_u32 s15, s26
	v_or_b32_e32 v21, v5, v21
	s_cbranch_scc1 .LBB4_1069
	s_branch .LBB4_1072
.LBB4_1070:                             ;   in Loop: Header=BB4_1027 Depth=1
                                        ; implicit-def: $vgpr20_vgpr21
                                        ; implicit-def: $sgpr28
	s_branch .LBB4_1073
.LBB4_1071:                             ;   in Loop: Header=BB4_1027 Depth=1
	v_mov_b32_e32 v20, 0
	v_mov_b32_e32 v21, 0
.LBB4_1072:                             ;   in Loop: Header=BB4_1027 Depth=1
	s_mov_b32 s28, 0
	s_cbranch_execnz .LBB4_1074
.LBB4_1073:                             ;   in Loop: Header=BB4_1027 Depth=1
	global_load_dwordx2 v[20:21], v28, s[4:5]
	s_add_i32 s28, s15, -8
	s_add_u32 s4, s4, 8
	s_addc_u32 s5, s5, 0
.LBB4_1074:                             ;   in Loop: Header=BB4_1027 Depth=1
	s_cmp_gt_u32 s28, 7
	s_cbranch_scc1 .LBB4_1078
; %bb.1075:                             ;   in Loop: Header=BB4_1027 Depth=1
	s_cmp_eq_u32 s28, 0
	s_cbranch_scc1 .LBB4_1079
; %bb.1076:                             ;   in Loop: Header=BB4_1027 Depth=1
	v_mov_b32_e32 v22, 0
	s_mov_b64 s[24:25], 0
	v_mov_b32_e32 v23, 0
	s_mov_b64 s[26:27], s[4:5]
.LBB4_1077:                             ;   Parent Loop BB4_1027 Depth=1
                                        ; =>  This Inner Loop Header: Depth=2
	global_load_ubyte v4, v28, s[26:27]
	s_add_i32 s28, s28, -1
	s_waitcnt vmcnt(0)
	v_and_b32_e32 v27, 0xffff, v4
	v_lshlrev_b64 v[4:5], s24, v[27:28]
	s_add_u32 s24, s24, 8
	s_addc_u32 s25, s25, 0
	s_add_u32 s26, s26, 1
	s_addc_u32 s27, s27, 0
	v_or_b32_e32 v22, v4, v22
	s_cmp_lg_u32 s28, 0
	v_or_b32_e32 v23, v5, v23
	s_cbranch_scc1 .LBB4_1077
	s_branch .LBB4_1080
.LBB4_1078:                             ;   in Loop: Header=BB4_1027 Depth=1
	s_branch .LBB4_1081
.LBB4_1079:                             ;   in Loop: Header=BB4_1027 Depth=1
	v_mov_b32_e32 v22, 0
	v_mov_b32_e32 v23, 0
.LBB4_1080:                             ;   in Loop: Header=BB4_1027 Depth=1
	s_cbranch_execnz .LBB4_1082
.LBB4_1081:                             ;   in Loop: Header=BB4_1027 Depth=1
	global_load_dwordx2 v[22:23], v28, s[4:5]
.LBB4_1082:                             ;   in Loop: Header=BB4_1027 Depth=1
	v_readfirstlane_b32 s4, v32
	s_waitcnt vmcnt(0)
	v_mov_b32_e32 v4, 0
	v_mov_b32_e32 v5, 0
	v_cmp_eq_u32_e64 s[4:5], s4, v32
	s_and_saveexec_b64 s[24:25], s[4:5]
	s_cbranch_execz .LBB4_1088
; %bb.1083:                             ;   in Loop: Header=BB4_1027 Depth=1
	global_load_dwordx2 v[26:27], v28, s[6:7] offset:24 glc
	s_waitcnt vmcnt(0)
	buffer_wbinvl1_vol
	global_load_dwordx2 v[4:5], v28, s[6:7] offset:40
	global_load_dwordx2 v[8:9], v28, s[6:7]
	s_waitcnt vmcnt(1)
	v_and_b32_e32 v4, v4, v26
	v_and_b32_e32 v5, v5, v27
	v_mul_lo_u32 v5, v5, 24
	v_mul_hi_u32 v24, v4, 24
	v_mul_lo_u32 v4, v4, 24
	v_add_u32_e32 v5, v24, v5
	s_waitcnt vmcnt(0)
	v_add_co_u32_e32 v4, vcc, v8, v4
	v_addc_co_u32_e32 v5, vcc, v9, v5, vcc
	global_load_dwordx2 v[24:25], v[4:5], off glc
	s_waitcnt vmcnt(0)
	global_atomic_cmpswap_x2 v[4:5], v28, v[24:27], s[6:7] offset:24 glc
	s_waitcnt vmcnt(0)
	buffer_wbinvl1_vol
	v_cmp_ne_u64_e32 vcc, v[4:5], v[26:27]
	s_and_saveexec_b64 s[26:27], vcc
	s_cbranch_execz .LBB4_1087
; %bb.1084:                             ;   in Loop: Header=BB4_1027 Depth=1
	s_mov_b64 s[28:29], 0
.LBB4_1085:                             ;   Parent Loop BB4_1027 Depth=1
                                        ; =>  This Inner Loop Header: Depth=2
	s_sleep 1
	global_load_dwordx2 v[8:9], v28, s[6:7] offset:40
	global_load_dwordx2 v[24:25], v28, s[6:7]
	v_mov_b32_e32 v27, v5
	v_mov_b32_e32 v26, v4
	s_waitcnt vmcnt(1)
	v_and_b32_e32 v4, v8, v26
	s_waitcnt vmcnt(0)
	v_mad_u64_u32 v[4:5], vcc, v4, 24, v[24:25]
	v_and_b32_e32 v8, v9, v27
	v_mad_u64_u32 v[8:9], vcc, v8, 24, v[5:6]
	v_mov_b32_e32 v5, v8
	global_load_dwordx2 v[24:25], v[4:5], off glc
	s_waitcnt vmcnt(0)
	global_atomic_cmpswap_x2 v[4:5], v28, v[24:27], s[6:7] offset:24 glc
	s_waitcnt vmcnt(0)
	buffer_wbinvl1_vol
	v_cmp_eq_u64_e32 vcc, v[4:5], v[26:27]
	s_or_b64 s[28:29], vcc, s[28:29]
	s_andn2_b64 exec, exec, s[28:29]
	s_cbranch_execnz .LBB4_1085
; %bb.1086:                             ;   in Loop: Header=BB4_1027 Depth=1
	s_or_b64 exec, exec, s[28:29]
.LBB4_1087:                             ;   in Loop: Header=BB4_1027 Depth=1
	s_or_b64 exec, exec, s[26:27]
.LBB4_1088:                             ;   in Loop: Header=BB4_1027 Depth=1
	s_or_b64 exec, exec, s[24:25]
	global_load_dwordx2 v[8:9], v28, s[6:7] offset:40
	global_load_dwordx4 v[24:27], v28, s[6:7]
	v_readfirstlane_b32 s24, v4
	v_readfirstlane_b32 s25, v5
	s_mov_b64 s[26:27], exec
	s_waitcnt vmcnt(1)
	v_readfirstlane_b32 s28, v8
	v_readfirstlane_b32 s29, v9
	s_and_b64 s[28:29], s[24:25], s[28:29]
	s_mul_i32 s15, s29, 24
	s_mul_hi_u32 vcc_lo, s28, 24
	s_mul_i32 vcc_hi, s28, 24
	s_add_i32 s15, vcc_lo, s15
	v_mov_b32_e32 v4, s15
	s_waitcnt vmcnt(0)
	v_add_co_u32_e32 v29, vcc, vcc_hi, v24
	v_addc_co_u32_e32 v30, vcc, v25, v4, vcc
	s_and_saveexec_b64 vcc, s[4:5]
	s_cbranch_execz .LBB4_1090
; %bb.1089:                             ;   in Loop: Header=BB4_1027 Depth=1
	v_mov_b32_e32 v4, s26
	v_mov_b32_e32 v5, s27
	global_store_dwordx4 v[29:30], v[4:7], off offset:8
.LBB4_1090:                             ;   in Loop: Header=BB4_1027 Depth=1
	s_or_b64 exec, exec, vcc
	s_lshl_b64 s[26:27], s[28:29], 12
	v_mov_b32_e32 v4, s27
	v_add_co_u32_e32 v26, vcc, s26, v26
	v_addc_co_u32_e32 v34, vcc, v27, v4, vcc
	v_cmp_gt_u64_e64 vcc, s[20:21], 56
	v_or_b32_e32 v5, v2, v33
	s_lshl_b32 s15, s22, 2
	v_cndmask_b32_e32 v2, v5, v2, vcc
	s_add_i32 s15, s15, 28
	v_or_b32_e32 v4, 0, v3
	s_and_b32 s15, s15, 0x1e0
	v_and_b32_e32 v2, 0xffffff1f, v2
	v_cndmask_b32_e32 v9, v4, v3, vcc
	v_or_b32_e32 v8, s15, v2
	v_readfirstlane_b32 s26, v26
	v_readfirstlane_b32 s27, v34
	s_nop 4
	global_store_dwordx4 v31, v[8:11], s[26:27]
	global_store_dwordx4 v31, v[12:15], s[26:27] offset:16
	global_store_dwordx4 v31, v[16:19], s[26:27] offset:32
	;; [unrolled: 1-line block ×3, first 2 shown]
	s_and_saveexec_b64 s[26:27], s[4:5]
	s_cbranch_execz .LBB4_1098
; %bb.1091:                             ;   in Loop: Header=BB4_1027 Depth=1
	global_load_dwordx2 v[12:13], v28, s[6:7] offset:32 glc
	global_load_dwordx2 v[2:3], v28, s[6:7] offset:40
	v_mov_b32_e32 v10, s24
	v_mov_b32_e32 v11, s25
	s_waitcnt vmcnt(0)
	v_readfirstlane_b32 s28, v2
	v_readfirstlane_b32 s29, v3
	s_and_b64 s[28:29], s[28:29], s[24:25]
	s_mul_i32 s15, s29, 24
	s_mul_hi_u32 s29, s28, 24
	s_mul_i32 s28, s28, 24
	s_add_i32 s15, s29, s15
	v_mov_b32_e32 v2, s15
	v_add_co_u32_e32 v8, vcc, s28, v24
	v_addc_co_u32_e32 v9, vcc, v25, v2, vcc
	global_store_dwordx2 v[8:9], v[12:13], off
	s_waitcnt vmcnt(0)
	global_atomic_cmpswap_x2 v[4:5], v28, v[10:13], s[6:7] offset:32 glc
	s_waitcnt vmcnt(0)
	v_cmp_ne_u64_e32 vcc, v[4:5], v[12:13]
	s_and_saveexec_b64 s[28:29], vcc
	s_cbranch_execz .LBB4_1094
; %bb.1092:                             ;   in Loop: Header=BB4_1027 Depth=1
	s_mov_b64 s[30:31], 0
.LBB4_1093:                             ;   Parent Loop BB4_1027 Depth=1
                                        ; =>  This Inner Loop Header: Depth=2
	s_sleep 1
	global_store_dwordx2 v[8:9], v[4:5], off
	v_mov_b32_e32 v2, s24
	v_mov_b32_e32 v3, s25
	s_waitcnt vmcnt(0)
	global_atomic_cmpswap_x2 v[2:3], v28, v[2:5], s[6:7] offset:32 glc
	s_waitcnt vmcnt(0)
	v_cmp_eq_u64_e32 vcc, v[2:3], v[4:5]
	v_mov_b32_e32 v5, v3
	s_or_b64 s[30:31], vcc, s[30:31]
	v_mov_b32_e32 v4, v2
	s_andn2_b64 exec, exec, s[30:31]
	s_cbranch_execnz .LBB4_1093
.LBB4_1094:                             ;   in Loop: Header=BB4_1027 Depth=1
	s_or_b64 exec, exec, s[28:29]
	global_load_dwordx2 v[2:3], v28, s[6:7] offset:16
	s_mov_b64 s[30:31], exec
	v_mbcnt_lo_u32_b32 v4, s30, 0
	v_mbcnt_hi_u32_b32 v4, s31, v4
	v_cmp_eq_u32_e32 vcc, 0, v4
	s_and_saveexec_b64 s[28:29], vcc
	s_cbranch_execz .LBB4_1096
; %bb.1095:                             ;   in Loop: Header=BB4_1027 Depth=1
	s_bcnt1_i32_b64 s15, s[30:31]
	v_mov_b32_e32 v27, s15
	s_waitcnt vmcnt(0)
	global_atomic_add_x2 v[2:3], v[27:28], off offset:8
.LBB4_1096:                             ;   in Loop: Header=BB4_1027 Depth=1
	s_or_b64 exec, exec, s[28:29]
	s_waitcnt vmcnt(0)
	global_load_dwordx2 v[4:5], v[2:3], off offset:16
	s_waitcnt vmcnt(0)
	v_cmp_eq_u64_e32 vcc, 0, v[4:5]
	s_cbranch_vccnz .LBB4_1098
; %bb.1097:                             ;   in Loop: Header=BB4_1027 Depth=1
	global_load_dword v27, v[2:3], off offset:24
	s_waitcnt vmcnt(0)
	v_and_b32_e32 v2, 0xffffff, v27
	v_readfirstlane_b32 m0, v2
	global_store_dwordx2 v[4:5], v[27:28], off
	s_sendmsg sendmsg(MSG_INTERRUPT)
.LBB4_1098:                             ;   in Loop: Header=BB4_1027 Depth=1
	s_or_b64 exec, exec, s[26:27]
	v_add_co_u32_e32 v2, vcc, v26, v31
	v_addc_co_u32_e32 v3, vcc, 0, v34, vcc
	s_branch .LBB4_1102
.LBB4_1099:                             ;   in Loop: Header=BB4_1102 Depth=2
	s_or_b64 exec, exec, s[26:27]
	v_readfirstlane_b32 s15, v4
	s_cmp_eq_u32 s15, 0
	s_cbranch_scc1 .LBB4_1101
; %bb.1100:                             ;   in Loop: Header=BB4_1102 Depth=2
	s_sleep 1
	s_cbranch_execnz .LBB4_1102
	s_branch .LBB4_1104
.LBB4_1101:                             ;   in Loop: Header=BB4_1027 Depth=1
	s_branch .LBB4_1104
.LBB4_1102:                             ;   Parent Loop BB4_1027 Depth=1
                                        ; =>  This Inner Loop Header: Depth=2
	v_mov_b32_e32 v4, 1
	s_and_saveexec_b64 s[26:27], s[4:5]
	s_cbranch_execz .LBB4_1099
; %bb.1103:                             ;   in Loop: Header=BB4_1102 Depth=2
	global_load_dword v4, v[29:30], off offset:20 glc
	s_waitcnt vmcnt(0)
	buffer_wbinvl1_vol
	v_and_b32_e32 v4, 1, v4
	s_branch .LBB4_1099
.LBB4_1104:                             ;   in Loop: Header=BB4_1027 Depth=1
	global_load_dwordx4 v[2:5], v[2:3], off
	s_and_saveexec_b64 s[26:27], s[4:5]
	s_cbranch_execz .LBB4_1026
; %bb.1105:                             ;   in Loop: Header=BB4_1027 Depth=1
	global_load_dwordx2 v[4:5], v28, s[6:7] offset:40
	global_load_dwordx2 v[12:13], v28, s[6:7] offset:24 glc
	global_load_dwordx2 v[14:15], v28, s[6:7]
	v_mov_b32_e32 v9, s25
	s_waitcnt vmcnt(2)
	v_add_co_u32_e32 v10, vcc, 1, v4
	v_addc_co_u32_e32 v11, vcc, 0, v5, vcc
	v_add_co_u32_e32 v8, vcc, s24, v10
	v_addc_co_u32_e32 v9, vcc, v11, v9, vcc
	v_cmp_eq_u64_e32 vcc, 0, v[8:9]
	v_cndmask_b32_e32 v9, v9, v11, vcc
	v_cndmask_b32_e32 v8, v8, v10, vcc
	v_and_b32_e32 v5, v9, v5
	v_and_b32_e32 v4, v8, v4
	v_mul_lo_u32 v5, v5, 24
	v_mul_hi_u32 v11, v4, 24
	v_mul_lo_u32 v4, v4, 24
	s_waitcnt vmcnt(1)
	v_mov_b32_e32 v10, v12
	v_add_u32_e32 v5, v11, v5
	s_waitcnt vmcnt(0)
	v_add_co_u32_e32 v4, vcc, v14, v4
	v_addc_co_u32_e32 v5, vcc, v15, v5, vcc
	global_store_dwordx2 v[4:5], v[12:13], off
	v_mov_b32_e32 v11, v13
	s_waitcnt vmcnt(0)
	global_atomic_cmpswap_x2 v[10:11], v28, v[8:11], s[6:7] offset:24 glc
	s_waitcnt vmcnt(0)
	v_cmp_ne_u64_e32 vcc, v[10:11], v[12:13]
	s_and_b64 exec, exec, vcc
	s_cbranch_execz .LBB4_1026
; %bb.1106:                             ;   in Loop: Header=BB4_1027 Depth=1
	s_mov_b64 s[4:5], 0
.LBB4_1107:                             ;   Parent Loop BB4_1027 Depth=1
                                        ; =>  This Inner Loop Header: Depth=2
	s_sleep 1
	global_store_dwordx2 v[4:5], v[10:11], off
	s_waitcnt vmcnt(0)
	global_atomic_cmpswap_x2 v[12:13], v28, v[8:11], s[6:7] offset:24 glc
	s_waitcnt vmcnt(0)
	v_cmp_eq_u64_e32 vcc, v[12:13], v[10:11]
	v_mov_b32_e32 v10, v12
	s_or_b64 s[4:5], vcc, s[4:5]
	v_mov_b32_e32 v11, v13
	s_andn2_b64 exec, exec, s[4:5]
	s_cbranch_execnz .LBB4_1107
	s_branch .LBB4_1026
.LBB4_1108:
	s_branch .LBB4_1136
.LBB4_1109:
                                        ; implicit-def: $vgpr2_vgpr3
	s_cbranch_execz .LBB4_1136
; %bb.1110:
	v_readfirstlane_b32 s4, v32
	v_mov_b32_e32 v8, 0
	v_mov_b32_e32 v9, 0
	v_cmp_eq_u32_e64 s[4:5], s4, v32
	s_and_saveexec_b64 s[18:19], s[4:5]
	s_cbranch_execz .LBB4_1116
; %bb.1111:
	s_waitcnt vmcnt(0)
	v_mov_b32_e32 v2, 0
	global_load_dwordx2 v[5:6], v2, s[6:7] offset:24 glc
	s_waitcnt vmcnt(0)
	buffer_wbinvl1_vol
	global_load_dwordx2 v[3:4], v2, s[6:7] offset:40
	global_load_dwordx2 v[7:8], v2, s[6:7]
	s_waitcnt vmcnt(1)
	v_and_b32_e32 v3, v3, v5
	v_and_b32_e32 v4, v4, v6
	v_mul_lo_u32 v4, v4, 24
	v_mul_hi_u32 v9, v3, 24
	v_mul_lo_u32 v3, v3, 24
	v_add_u32_e32 v4, v9, v4
	s_waitcnt vmcnt(0)
	v_add_co_u32_e32 v3, vcc, v7, v3
	v_addc_co_u32_e32 v4, vcc, v8, v4, vcc
	global_load_dwordx2 v[3:4], v[3:4], off glc
	s_waitcnt vmcnt(0)
	global_atomic_cmpswap_x2 v[8:9], v2, v[3:6], s[6:7] offset:24 glc
	s_waitcnt vmcnt(0)
	buffer_wbinvl1_vol
	v_cmp_ne_u64_e32 vcc, v[8:9], v[5:6]
	s_and_saveexec_b64 s[20:21], vcc
	s_cbranch_execz .LBB4_1115
; %bb.1112:
	s_mov_b64 s[22:23], 0
.LBB4_1113:                             ; =>This Inner Loop Header: Depth=1
	s_sleep 1
	global_load_dwordx2 v[3:4], v2, s[6:7] offset:40
	global_load_dwordx2 v[10:11], v2, s[6:7]
	v_mov_b32_e32 v5, v8
	v_mov_b32_e32 v6, v9
	s_waitcnt vmcnt(1)
	v_and_b32_e32 v3, v3, v5
	s_waitcnt vmcnt(0)
	v_mad_u64_u32 v[7:8], s[24:25], v3, 24, v[10:11]
	v_and_b32_e32 v4, v4, v6
	v_mov_b32_e32 v3, v8
	v_mad_u64_u32 v[3:4], s[24:25], v4, 24, v[3:4]
	v_mov_b32_e32 v8, v3
	global_load_dwordx2 v[3:4], v[7:8], off glc
	s_waitcnt vmcnt(0)
	global_atomic_cmpswap_x2 v[8:9], v2, v[3:6], s[6:7] offset:24 glc
	s_waitcnt vmcnt(0)
	buffer_wbinvl1_vol
	v_cmp_eq_u64_e32 vcc, v[8:9], v[5:6]
	s_or_b64 s[22:23], vcc, s[22:23]
	s_andn2_b64 exec, exec, s[22:23]
	s_cbranch_execnz .LBB4_1113
; %bb.1114:
	s_or_b64 exec, exec, s[22:23]
.LBB4_1115:
	s_or_b64 exec, exec, s[20:21]
.LBB4_1116:
	s_or_b64 exec, exec, s[18:19]
	s_waitcnt vmcnt(0)
	v_mov_b32_e32 v2, 0
	global_load_dwordx2 v[10:11], v2, s[6:7] offset:40
	global_load_dwordx4 v[4:7], v2, s[6:7]
	v_readfirstlane_b32 s18, v8
	v_readfirstlane_b32 s19, v9
	s_mov_b64 s[20:21], exec
	s_waitcnt vmcnt(1)
	v_readfirstlane_b32 s22, v10
	v_readfirstlane_b32 s23, v11
	s_and_b64 s[22:23], s[18:19], s[22:23]
	s_mul_i32 s15, s23, 24
	s_mul_hi_u32 s24, s22, 24
	s_mul_i32 s25, s22, 24
	s_add_i32 s15, s24, s15
	v_mov_b32_e32 v3, s15
	s_waitcnt vmcnt(0)
	v_add_co_u32_e32 v8, vcc, s25, v4
	v_addc_co_u32_e32 v9, vcc, v5, v3, vcc
	s_and_saveexec_b64 s[24:25], s[4:5]
	s_cbranch_execz .LBB4_1118
; %bb.1117:
	v_mov_b32_e32 v10, s20
	v_mov_b32_e32 v11, s21
	;; [unrolled: 1-line block ×4, first 2 shown]
	global_store_dwordx4 v[8:9], v[10:13], off offset:8
.LBB4_1118:
	s_or_b64 exec, exec, s[24:25]
	s_lshl_b64 s[20:21], s[22:23], 12
	v_mov_b32_e32 v3, s21
	v_add_co_u32_e32 v10, vcc, s20, v6
	v_addc_co_u32_e32 v11, vcc, v7, v3, vcc
	s_movk_i32 s15, 0xff1f
	v_and_or_b32 v0, v0, s15, 32
	s_mov_b32 s20, 0
	v_mov_b32_e32 v3, v2
	v_readfirstlane_b32 s24, v10
	v_readfirstlane_b32 s25, v11
	v_add_co_u32_e32 v6, vcc, v10, v31
	s_mov_b32 s21, s20
	s_mov_b32 s22, s20
	;; [unrolled: 1-line block ×3, first 2 shown]
	s_nop 0
	global_store_dwordx4 v31, v[0:3], s[24:25]
	v_addc_co_u32_e32 v7, vcc, 0, v11, vcc
	v_mov_b32_e32 v0, s20
	v_mov_b32_e32 v1, s21
	;; [unrolled: 1-line block ×4, first 2 shown]
	global_store_dwordx4 v31, v[0:3], s[24:25] offset:16
	global_store_dwordx4 v31, v[0:3], s[24:25] offset:32
	;; [unrolled: 1-line block ×3, first 2 shown]
	s_and_saveexec_b64 s[20:21], s[4:5]
	s_cbranch_execz .LBB4_1126
; %bb.1119:
	v_mov_b32_e32 v10, 0
	global_load_dwordx2 v[13:14], v10, s[6:7] offset:32 glc
	global_load_dwordx2 v[0:1], v10, s[6:7] offset:40
	v_mov_b32_e32 v11, s18
	v_mov_b32_e32 v12, s19
	s_waitcnt vmcnt(0)
	v_readfirstlane_b32 s22, v0
	v_readfirstlane_b32 s23, v1
	s_and_b64 s[22:23], s[22:23], s[18:19]
	s_mul_i32 s15, s23, 24
	s_mul_hi_u32 s23, s22, 24
	s_mul_i32 s22, s22, 24
	s_add_i32 s15, s23, s15
	v_mov_b32_e32 v0, s15
	v_add_co_u32_e32 v4, vcc, s22, v4
	v_addc_co_u32_e32 v5, vcc, v5, v0, vcc
	global_store_dwordx2 v[4:5], v[13:14], off
	s_waitcnt vmcnt(0)
	global_atomic_cmpswap_x2 v[2:3], v10, v[11:14], s[6:7] offset:32 glc
	s_waitcnt vmcnt(0)
	v_cmp_ne_u64_e32 vcc, v[2:3], v[13:14]
	s_and_saveexec_b64 s[22:23], vcc
	s_cbranch_execz .LBB4_1122
; %bb.1120:
	s_mov_b64 s[24:25], 0
.LBB4_1121:                             ; =>This Inner Loop Header: Depth=1
	s_sleep 1
	global_store_dwordx2 v[4:5], v[2:3], off
	v_mov_b32_e32 v0, s18
	v_mov_b32_e32 v1, s19
	s_waitcnt vmcnt(0)
	global_atomic_cmpswap_x2 v[0:1], v10, v[0:3], s[6:7] offset:32 glc
	s_waitcnt vmcnt(0)
	v_cmp_eq_u64_e32 vcc, v[0:1], v[2:3]
	v_mov_b32_e32 v3, v1
	s_or_b64 s[24:25], vcc, s[24:25]
	v_mov_b32_e32 v2, v0
	s_andn2_b64 exec, exec, s[24:25]
	s_cbranch_execnz .LBB4_1121
.LBB4_1122:
	s_or_b64 exec, exec, s[22:23]
	v_mov_b32_e32 v3, 0
	global_load_dwordx2 v[0:1], v3, s[6:7] offset:16
	s_mov_b64 s[22:23], exec
	v_mbcnt_lo_u32_b32 v2, s22, 0
	v_mbcnt_hi_u32_b32 v2, s23, v2
	v_cmp_eq_u32_e32 vcc, 0, v2
	s_and_saveexec_b64 s[24:25], vcc
	s_cbranch_execz .LBB4_1124
; %bb.1123:
	s_bcnt1_i32_b64 s15, s[22:23]
	v_mov_b32_e32 v2, s15
	s_waitcnt vmcnt(0)
	global_atomic_add_x2 v[0:1], v[2:3], off offset:8
.LBB4_1124:
	s_or_b64 exec, exec, s[24:25]
	s_waitcnt vmcnt(0)
	global_load_dwordx2 v[2:3], v[0:1], off offset:16
	s_waitcnt vmcnt(0)
	v_cmp_eq_u64_e32 vcc, 0, v[2:3]
	s_cbranch_vccnz .LBB4_1126
; %bb.1125:
	global_load_dword v0, v[0:1], off offset:24
	v_mov_b32_e32 v1, 0
	s_waitcnt vmcnt(0)
	global_store_dwordx2 v[2:3], v[0:1], off
	v_and_b32_e32 v0, 0xffffff, v0
	v_readfirstlane_b32 m0, v0
	s_sendmsg sendmsg(MSG_INTERRUPT)
.LBB4_1126:
	s_or_b64 exec, exec, s[20:21]
	s_branch .LBB4_1130
.LBB4_1127:                             ;   in Loop: Header=BB4_1130 Depth=1
	s_or_b64 exec, exec, s[20:21]
	v_readfirstlane_b32 s15, v0
	s_cmp_eq_u32 s15, 0
	s_cbranch_scc1 .LBB4_1129
; %bb.1128:                             ;   in Loop: Header=BB4_1130 Depth=1
	s_sleep 1
	s_cbranch_execnz .LBB4_1130
	s_branch .LBB4_1132
.LBB4_1129:
	s_branch .LBB4_1132
.LBB4_1130:                             ; =>This Inner Loop Header: Depth=1
	v_mov_b32_e32 v0, 1
	s_and_saveexec_b64 s[20:21], s[4:5]
	s_cbranch_execz .LBB4_1127
; %bb.1131:                             ;   in Loop: Header=BB4_1130 Depth=1
	global_load_dword v0, v[8:9], off offset:20 glc
	s_waitcnt vmcnt(0)
	buffer_wbinvl1_vol
	v_and_b32_e32 v0, 1, v0
	s_branch .LBB4_1127
.LBB4_1132:
	global_load_dwordx2 v[2:3], v[6:7], off
	s_and_saveexec_b64 s[20:21], s[4:5]
	s_cbranch_execz .LBB4_1135
; %bb.1133:
	v_mov_b32_e32 v8, 0
	global_load_dwordx2 v[0:1], v8, s[6:7] offset:40
	global_load_dwordx2 v[9:10], v8, s[6:7] offset:24 glc
	global_load_dwordx2 v[11:12], v8, s[6:7]
	v_mov_b32_e32 v5, s19
	s_mov_b64 s[4:5], 0
	s_waitcnt vmcnt(2)
	v_add_co_u32_e32 v6, vcc, 1, v0
	v_addc_co_u32_e32 v7, vcc, 0, v1, vcc
	v_add_co_u32_e32 v4, vcc, s18, v6
	v_addc_co_u32_e32 v5, vcc, v7, v5, vcc
	v_cmp_eq_u64_e32 vcc, 0, v[4:5]
	v_cndmask_b32_e32 v5, v5, v7, vcc
	v_cndmask_b32_e32 v4, v4, v6, vcc
	v_and_b32_e32 v1, v5, v1
	v_and_b32_e32 v0, v4, v0
	v_mul_lo_u32 v1, v1, 24
	v_mul_hi_u32 v7, v0, 24
	v_mul_lo_u32 v0, v0, 24
	s_waitcnt vmcnt(1)
	v_mov_b32_e32 v6, v9
	v_add_u32_e32 v1, v7, v1
	s_waitcnt vmcnt(0)
	v_add_co_u32_e32 v0, vcc, v11, v0
	v_addc_co_u32_e32 v1, vcc, v12, v1, vcc
	global_store_dwordx2 v[0:1], v[9:10], off
	v_mov_b32_e32 v7, v10
	s_waitcnt vmcnt(0)
	global_atomic_cmpswap_x2 v[6:7], v8, v[4:7], s[6:7] offset:24 glc
	s_waitcnt vmcnt(0)
	v_cmp_ne_u64_e32 vcc, v[6:7], v[9:10]
	s_and_b64 exec, exec, vcc
	s_cbranch_execz .LBB4_1135
.LBB4_1134:                             ; =>This Inner Loop Header: Depth=1
	s_sleep 1
	global_store_dwordx2 v[0:1], v[6:7], off
	s_waitcnt vmcnt(0)
	global_atomic_cmpswap_x2 v[9:10], v8, v[4:7], s[6:7] offset:24 glc
	s_waitcnt vmcnt(0)
	v_cmp_eq_u64_e32 vcc, v[9:10], v[6:7]
	v_mov_b32_e32 v6, v9
	s_or_b64 s[4:5], vcc, s[4:5]
	v_mov_b32_e32 v7, v10
	s_andn2_b64 exec, exec, s[4:5]
	s_cbranch_execnz .LBB4_1134
.LBB4_1135:
	s_or_b64 exec, exec, s[20:21]
.LBB4_1136:
	v_readfirstlane_b32 s4, v32
	s_waitcnt vmcnt(0)
	v_mov_b32_e32 v0, 0
	v_mov_b32_e32 v1, 0
	v_cmp_eq_u32_e64 s[4:5], s4, v32
	s_and_saveexec_b64 s[18:19], s[4:5]
	s_cbranch_execz .LBB4_1142
; %bb.1137:
	v_mov_b32_e32 v4, 0
	global_load_dwordx2 v[7:8], v4, s[6:7] offset:24 glc
	s_waitcnt vmcnt(0)
	buffer_wbinvl1_vol
	global_load_dwordx2 v[0:1], v4, s[6:7] offset:40
	global_load_dwordx2 v[5:6], v4, s[6:7]
	s_waitcnt vmcnt(1)
	v_and_b32_e32 v0, v0, v7
	v_and_b32_e32 v1, v1, v8
	v_mul_lo_u32 v1, v1, 24
	v_mul_hi_u32 v9, v0, 24
	v_mul_lo_u32 v0, v0, 24
	v_add_u32_e32 v1, v9, v1
	s_waitcnt vmcnt(0)
	v_add_co_u32_e32 v0, vcc, v5, v0
	v_addc_co_u32_e32 v1, vcc, v6, v1, vcc
	global_load_dwordx2 v[5:6], v[0:1], off glc
	s_waitcnt vmcnt(0)
	global_atomic_cmpswap_x2 v[0:1], v4, v[5:8], s[6:7] offset:24 glc
	s_waitcnt vmcnt(0)
	buffer_wbinvl1_vol
	v_cmp_ne_u64_e32 vcc, v[0:1], v[7:8]
	s_and_saveexec_b64 s[20:21], vcc
	s_cbranch_execz .LBB4_1141
; %bb.1138:
	s_mov_b64 s[22:23], 0
.LBB4_1139:                             ; =>This Inner Loop Header: Depth=1
	s_sleep 1
	global_load_dwordx2 v[5:6], v4, s[6:7] offset:40
	global_load_dwordx2 v[9:10], v4, s[6:7]
	v_mov_b32_e32 v8, v1
	v_mov_b32_e32 v7, v0
	s_waitcnt vmcnt(1)
	v_and_b32_e32 v0, v5, v7
	s_waitcnt vmcnt(0)
	v_mad_u64_u32 v[0:1], s[24:25], v0, 24, v[9:10]
	v_and_b32_e32 v5, v6, v8
	v_mad_u64_u32 v[5:6], s[24:25], v5, 24, v[1:2]
	v_mov_b32_e32 v1, v5
	global_load_dwordx2 v[5:6], v[0:1], off glc
	s_waitcnt vmcnt(0)
	global_atomic_cmpswap_x2 v[0:1], v4, v[5:8], s[6:7] offset:24 glc
	s_waitcnt vmcnt(0)
	buffer_wbinvl1_vol
	v_cmp_eq_u64_e32 vcc, v[0:1], v[7:8]
	s_or_b64 s[22:23], vcc, s[22:23]
	s_andn2_b64 exec, exec, s[22:23]
	s_cbranch_execnz .LBB4_1139
; %bb.1140:
	s_or_b64 exec, exec, s[22:23]
.LBB4_1141:
	s_or_b64 exec, exec, s[20:21]
.LBB4_1142:
	s_or_b64 exec, exec, s[18:19]
	v_mov_b32_e32 v5, 0
	global_load_dwordx2 v[10:11], v5, s[6:7] offset:40
	global_load_dwordx4 v[6:9], v5, s[6:7]
	v_readfirstlane_b32 s18, v0
	v_readfirstlane_b32 s19, v1
	s_mov_b64 s[20:21], exec
	s_waitcnt vmcnt(1)
	v_readfirstlane_b32 s22, v10
	v_readfirstlane_b32 s23, v11
	s_and_b64 s[22:23], s[18:19], s[22:23]
	s_mul_i32 s15, s23, 24
	s_mul_hi_u32 s24, s22, 24
	s_mul_i32 s25, s22, 24
	s_add_i32 s15, s24, s15
	v_mov_b32_e32 v0, s15
	s_waitcnt vmcnt(0)
	v_add_co_u32_e32 v10, vcc, s25, v6
	v_addc_co_u32_e32 v11, vcc, v7, v0, vcc
	s_and_saveexec_b64 s[24:25], s[4:5]
	s_cbranch_execz .LBB4_1144
; %bb.1143:
	v_mov_b32_e32 v12, s20
	v_mov_b32_e32 v13, s21
	;; [unrolled: 1-line block ×4, first 2 shown]
	global_store_dwordx4 v[10:11], v[12:15], off offset:8
.LBB4_1144:
	s_or_b64 exec, exec, s[24:25]
	s_lshl_b64 s[20:21], s[22:23], 12
	v_mov_b32_e32 v0, s21
	v_add_co_u32_e32 v1, vcc, s20, v8
	v_addc_co_u32_e32 v0, vcc, v9, v0, vcc
	s_movk_i32 s15, 0xff1d
	v_and_or_b32 v2, v2, s15, 34
	s_mov_b32 s20, 0
	v_mov_b32_e32 v4, 58
	v_readfirstlane_b32 s24, v1
	v_readfirstlane_b32 s25, v0
	s_mov_b32 s21, s20
	s_mov_b32 s22, s20
	;; [unrolled: 1-line block ×3, first 2 shown]
	s_nop 1
	global_store_dwordx4 v31, v[2:5], s[24:25]
	v_mov_b32_e32 v0, s20
	v_mov_b32_e32 v1, s21
	;; [unrolled: 1-line block ×4, first 2 shown]
	global_store_dwordx4 v31, v[0:3], s[24:25] offset:16
	global_store_dwordx4 v31, v[0:3], s[24:25] offset:32
	;; [unrolled: 1-line block ×3, first 2 shown]
	s_and_saveexec_b64 s[20:21], s[4:5]
	s_cbranch_execz .LBB4_1152
; %bb.1145:
	v_mov_b32_e32 v8, 0
	global_load_dwordx2 v[14:15], v8, s[6:7] offset:32 glc
	global_load_dwordx2 v[0:1], v8, s[6:7] offset:40
	v_mov_b32_e32 v12, s18
	v_mov_b32_e32 v13, s19
	s_waitcnt vmcnt(0)
	v_readfirstlane_b32 s22, v0
	v_readfirstlane_b32 s23, v1
	s_and_b64 s[22:23], s[22:23], s[18:19]
	s_mul_i32 s15, s23, 24
	s_mul_hi_u32 s23, s22, 24
	s_mul_i32 s22, s22, 24
	s_add_i32 s15, s23, s15
	v_mov_b32_e32 v0, s15
	v_add_co_u32_e32 v4, vcc, s22, v6
	v_addc_co_u32_e32 v5, vcc, v7, v0, vcc
	global_store_dwordx2 v[4:5], v[14:15], off
	s_waitcnt vmcnt(0)
	global_atomic_cmpswap_x2 v[2:3], v8, v[12:15], s[6:7] offset:32 glc
	s_waitcnt vmcnt(0)
	v_cmp_ne_u64_e32 vcc, v[2:3], v[14:15]
	s_and_saveexec_b64 s[22:23], vcc
	s_cbranch_execz .LBB4_1148
; %bb.1146:
	s_mov_b64 s[24:25], 0
.LBB4_1147:                             ; =>This Inner Loop Header: Depth=1
	s_sleep 1
	global_store_dwordx2 v[4:5], v[2:3], off
	v_mov_b32_e32 v0, s18
	v_mov_b32_e32 v1, s19
	s_waitcnt vmcnt(0)
	global_atomic_cmpswap_x2 v[0:1], v8, v[0:3], s[6:7] offset:32 glc
	s_waitcnt vmcnt(0)
	v_cmp_eq_u64_e32 vcc, v[0:1], v[2:3]
	v_mov_b32_e32 v3, v1
	s_or_b64 s[24:25], vcc, s[24:25]
	v_mov_b32_e32 v2, v0
	s_andn2_b64 exec, exec, s[24:25]
	s_cbranch_execnz .LBB4_1147
.LBB4_1148:
	s_or_b64 exec, exec, s[22:23]
	v_mov_b32_e32 v3, 0
	global_load_dwordx2 v[0:1], v3, s[6:7] offset:16
	s_mov_b64 s[22:23], exec
	v_mbcnt_lo_u32_b32 v2, s22, 0
	v_mbcnt_hi_u32_b32 v2, s23, v2
	v_cmp_eq_u32_e32 vcc, 0, v2
	s_and_saveexec_b64 s[24:25], vcc
	s_cbranch_execz .LBB4_1150
; %bb.1149:
	s_bcnt1_i32_b64 s15, s[22:23]
	v_mov_b32_e32 v2, s15
	s_waitcnt vmcnt(0)
	global_atomic_add_x2 v[0:1], v[2:3], off offset:8
.LBB4_1150:
	s_or_b64 exec, exec, s[24:25]
	s_waitcnt vmcnt(0)
	global_load_dwordx2 v[2:3], v[0:1], off offset:16
	s_waitcnt vmcnt(0)
	v_cmp_eq_u64_e32 vcc, 0, v[2:3]
	s_cbranch_vccnz .LBB4_1152
; %bb.1151:
	global_load_dword v0, v[0:1], off offset:24
	v_mov_b32_e32 v1, 0
	s_waitcnt vmcnt(0)
	global_store_dwordx2 v[2:3], v[0:1], off
	v_and_b32_e32 v0, 0xffffff, v0
	v_readfirstlane_b32 m0, v0
	s_sendmsg sendmsg(MSG_INTERRUPT)
.LBB4_1152:
	s_or_b64 exec, exec, s[20:21]
	s_branch .LBB4_1156
.LBB4_1153:                             ;   in Loop: Header=BB4_1156 Depth=1
	s_or_b64 exec, exec, s[20:21]
	v_readfirstlane_b32 s15, v0
	s_cmp_eq_u32 s15, 0
	s_cbranch_scc1 .LBB4_1155
; %bb.1154:                             ;   in Loop: Header=BB4_1156 Depth=1
	s_sleep 1
	s_cbranch_execnz .LBB4_1156
	s_branch .LBB4_1158
.LBB4_1155:
	s_branch .LBB4_1158
.LBB4_1156:                             ; =>This Inner Loop Header: Depth=1
	v_mov_b32_e32 v0, 1
	s_and_saveexec_b64 s[20:21], s[4:5]
	s_cbranch_execz .LBB4_1153
; %bb.1157:                             ;   in Loop: Header=BB4_1156 Depth=1
	global_load_dword v0, v[10:11], off offset:20 glc
	s_waitcnt vmcnt(0)
	buffer_wbinvl1_vol
	v_and_b32_e32 v0, 1, v0
	s_branch .LBB4_1153
.LBB4_1158:
	s_and_saveexec_b64 s[20:21], s[4:5]
	s_cbranch_execz .LBB4_1161
; %bb.1159:
	v_mov_b32_e32 v6, 0
	global_load_dwordx2 v[2:3], v6, s[6:7] offset:40
	global_load_dwordx2 v[7:8], v6, s[6:7] offset:24 glc
	global_load_dwordx2 v[4:5], v6, s[6:7]
	v_mov_b32_e32 v1, s19
	s_mov_b64 s[4:5], 0
	s_waitcnt vmcnt(2)
	v_add_co_u32_e32 v9, vcc, 1, v2
	v_addc_co_u32_e32 v10, vcc, 0, v3, vcc
	v_add_co_u32_e32 v0, vcc, s18, v9
	v_addc_co_u32_e32 v1, vcc, v10, v1, vcc
	v_cmp_eq_u64_e32 vcc, 0, v[0:1]
	v_cndmask_b32_e32 v1, v1, v10, vcc
	v_cndmask_b32_e32 v0, v0, v9, vcc
	v_and_b32_e32 v3, v1, v3
	v_and_b32_e32 v2, v0, v2
	v_mul_lo_u32 v3, v3, 24
	v_mul_hi_u32 v9, v2, 24
	v_mul_lo_u32 v10, v2, 24
	s_waitcnt vmcnt(1)
	v_mov_b32_e32 v2, v7
	v_add_u32_e32 v3, v9, v3
	s_waitcnt vmcnt(0)
	v_add_co_u32_e32 v4, vcc, v4, v10
	v_addc_co_u32_e32 v5, vcc, v5, v3, vcc
	global_store_dwordx2 v[4:5], v[7:8], off
	v_mov_b32_e32 v3, v8
	s_waitcnt vmcnt(0)
	global_atomic_cmpswap_x2 v[2:3], v6, v[0:3], s[6:7] offset:24 glc
	s_waitcnt vmcnt(0)
	v_cmp_ne_u64_e32 vcc, v[2:3], v[7:8]
	s_and_b64 exec, exec, vcc
	s_cbranch_execz .LBB4_1161
.LBB4_1160:                             ; =>This Inner Loop Header: Depth=1
	s_sleep 1
	global_store_dwordx2 v[4:5], v[2:3], off
	s_waitcnt vmcnt(0)
	global_atomic_cmpswap_x2 v[7:8], v6, v[0:3], s[6:7] offset:24 glc
	s_waitcnt vmcnt(0)
	v_cmp_eq_u64_e32 vcc, v[7:8], v[2:3]
	v_mov_b32_e32 v2, v7
	s_or_b64 s[4:5], vcc, s[4:5]
	v_mov_b32_e32 v3, v8
	s_andn2_b64 exec, exec, s[4:5]
	s_cbranch_execnz .LBB4_1160
.LBB4_1161:
	s_or_b64 exec, exec, s[20:21]
	v_readfirstlane_b32 s4, v32
	v_mov_b32_e32 v5, 0
	v_mov_b32_e32 v6, 0
	v_cmp_eq_u32_e64 s[4:5], s4, v32
	s_and_saveexec_b64 s[18:19], s[4:5]
	s_cbranch_execz .LBB4_1167
; %bb.1162:
	v_mov_b32_e32 v0, 0
	global_load_dwordx2 v[3:4], v0, s[6:7] offset:24 glc
	s_waitcnt vmcnt(0)
	buffer_wbinvl1_vol
	global_load_dwordx2 v[1:2], v0, s[6:7] offset:40
	global_load_dwordx2 v[5:6], v0, s[6:7]
	s_waitcnt vmcnt(1)
	v_and_b32_e32 v1, v1, v3
	v_and_b32_e32 v2, v2, v4
	v_mul_lo_u32 v2, v2, 24
	v_mul_hi_u32 v7, v1, 24
	v_mul_lo_u32 v1, v1, 24
	v_add_u32_e32 v2, v7, v2
	s_waitcnt vmcnt(0)
	v_add_co_u32_e32 v1, vcc, v5, v1
	v_addc_co_u32_e32 v2, vcc, v6, v2, vcc
	global_load_dwordx2 v[1:2], v[1:2], off glc
	s_waitcnt vmcnt(0)
	global_atomic_cmpswap_x2 v[5:6], v0, v[1:4], s[6:7] offset:24 glc
	s_waitcnt vmcnt(0)
	buffer_wbinvl1_vol
	v_cmp_ne_u64_e32 vcc, v[5:6], v[3:4]
	s_and_saveexec_b64 s[20:21], vcc
	s_cbranch_execz .LBB4_1166
; %bb.1163:
	s_mov_b64 s[22:23], 0
.LBB4_1164:                             ; =>This Inner Loop Header: Depth=1
	s_sleep 1
	global_load_dwordx2 v[1:2], v0, s[6:7] offset:40
	global_load_dwordx2 v[7:8], v0, s[6:7]
	v_mov_b32_e32 v3, v5
	v_mov_b32_e32 v4, v6
	s_waitcnt vmcnt(1)
	v_and_b32_e32 v1, v1, v3
	s_waitcnt vmcnt(0)
	v_mad_u64_u32 v[5:6], s[24:25], v1, 24, v[7:8]
	v_and_b32_e32 v2, v2, v4
	v_mov_b32_e32 v1, v6
	v_mad_u64_u32 v[1:2], s[24:25], v2, 24, v[1:2]
	v_mov_b32_e32 v6, v1
	global_load_dwordx2 v[1:2], v[5:6], off glc
	s_waitcnt vmcnt(0)
	global_atomic_cmpswap_x2 v[5:6], v0, v[1:4], s[6:7] offset:24 glc
	s_waitcnt vmcnt(0)
	buffer_wbinvl1_vol
	v_cmp_eq_u64_e32 vcc, v[5:6], v[3:4]
	s_or_b64 s[22:23], vcc, s[22:23]
	s_andn2_b64 exec, exec, s[22:23]
	s_cbranch_execnz .LBB4_1164
; %bb.1165:
	s_or_b64 exec, exec, s[22:23]
.LBB4_1166:
	s_or_b64 exec, exec, s[20:21]
.LBB4_1167:
	s_or_b64 exec, exec, s[18:19]
	v_mov_b32_e32 v4, 0
	global_load_dwordx2 v[7:8], v4, s[6:7] offset:40
	global_load_dwordx4 v[0:3], v4, s[6:7]
	v_readfirstlane_b32 s18, v5
	v_readfirstlane_b32 s19, v6
	s_mov_b64 s[20:21], exec
	s_waitcnt vmcnt(1)
	v_readfirstlane_b32 s22, v7
	v_readfirstlane_b32 s23, v8
	s_and_b64 s[22:23], s[18:19], s[22:23]
	s_mul_i32 s15, s23, 24
	s_mul_hi_u32 s24, s22, 24
	s_mul_i32 s25, s22, 24
	s_add_i32 s15, s24, s15
	v_mov_b32_e32 v5, s15
	s_waitcnt vmcnt(0)
	v_add_co_u32_e32 v7, vcc, s25, v0
	v_addc_co_u32_e32 v8, vcc, v1, v5, vcc
	s_and_saveexec_b64 s[24:25], s[4:5]
	s_cbranch_execz .LBB4_1169
; %bb.1168:
	v_mov_b32_e32 v9, s20
	v_mov_b32_e32 v10, s21
	;; [unrolled: 1-line block ×4, first 2 shown]
	global_store_dwordx4 v[7:8], v[9:12], off offset:8
.LBB4_1169:
	s_or_b64 exec, exec, s[24:25]
	s_lshl_b64 s[20:21], s[22:23], 12
	v_mov_b32_e32 v5, s21
	v_add_co_u32_e32 v2, vcc, s20, v2
	v_addc_co_u32_e32 v11, vcc, v3, v5, vcc
	s_mov_b32 s20, 0
	v_mov_b32_e32 v3, 33
	v_mov_b32_e32 v5, v4
	;; [unrolled: 1-line block ×3, first 2 shown]
	v_readfirstlane_b32 s24, v2
	v_readfirstlane_b32 s25, v11
	v_add_co_u32_e32 v9, vcc, v2, v31
	s_mov_b32 s21, s20
	s_mov_b32 s22, s20
	;; [unrolled: 1-line block ×3, first 2 shown]
	s_nop 0
	global_store_dwordx4 v31, v[3:6], s[24:25]
	v_mov_b32_e32 v2, s20
	v_addc_co_u32_e32 v10, vcc, 0, v11, vcc
	v_mov_b32_e32 v3, s21
	v_mov_b32_e32 v4, s22
	;; [unrolled: 1-line block ×3, first 2 shown]
	global_store_dwordx4 v31, v[2:5], s[24:25] offset:16
	global_store_dwordx4 v31, v[2:5], s[24:25] offset:32
	;; [unrolled: 1-line block ×3, first 2 shown]
	s_and_saveexec_b64 s[20:21], s[4:5]
	s_cbranch_execz .LBB4_1177
; %bb.1170:
	v_mov_b32_e32 v6, 0
	global_load_dwordx2 v[13:14], v6, s[6:7] offset:32 glc
	global_load_dwordx2 v[2:3], v6, s[6:7] offset:40
	v_mov_b32_e32 v11, s18
	v_mov_b32_e32 v12, s19
	s_waitcnt vmcnt(0)
	v_readfirstlane_b32 s22, v2
	v_readfirstlane_b32 s23, v3
	s_and_b64 s[22:23], s[22:23], s[18:19]
	s_mul_i32 s15, s23, 24
	s_mul_hi_u32 s23, s22, 24
	s_mul_i32 s22, s22, 24
	s_add_i32 s15, s23, s15
	v_mov_b32_e32 v2, s15
	v_add_co_u32_e32 v4, vcc, s22, v0
	v_addc_co_u32_e32 v5, vcc, v1, v2, vcc
	global_store_dwordx2 v[4:5], v[13:14], off
	s_waitcnt vmcnt(0)
	global_atomic_cmpswap_x2 v[2:3], v6, v[11:14], s[6:7] offset:32 glc
	s_waitcnt vmcnt(0)
	v_cmp_ne_u64_e32 vcc, v[2:3], v[13:14]
	s_and_saveexec_b64 s[22:23], vcc
	s_cbranch_execz .LBB4_1173
; %bb.1171:
	s_mov_b64 s[24:25], 0
.LBB4_1172:                             ; =>This Inner Loop Header: Depth=1
	s_sleep 1
	global_store_dwordx2 v[4:5], v[2:3], off
	v_mov_b32_e32 v0, s18
	v_mov_b32_e32 v1, s19
	s_waitcnt vmcnt(0)
	global_atomic_cmpswap_x2 v[0:1], v6, v[0:3], s[6:7] offset:32 glc
	s_waitcnt vmcnt(0)
	v_cmp_eq_u64_e32 vcc, v[0:1], v[2:3]
	v_mov_b32_e32 v3, v1
	s_or_b64 s[24:25], vcc, s[24:25]
	v_mov_b32_e32 v2, v0
	s_andn2_b64 exec, exec, s[24:25]
	s_cbranch_execnz .LBB4_1172
.LBB4_1173:
	s_or_b64 exec, exec, s[22:23]
	v_mov_b32_e32 v3, 0
	global_load_dwordx2 v[0:1], v3, s[6:7] offset:16
	s_mov_b64 s[22:23], exec
	v_mbcnt_lo_u32_b32 v2, s22, 0
	v_mbcnt_hi_u32_b32 v2, s23, v2
	v_cmp_eq_u32_e32 vcc, 0, v2
	s_and_saveexec_b64 s[24:25], vcc
	s_cbranch_execz .LBB4_1175
; %bb.1174:
	s_bcnt1_i32_b64 s15, s[22:23]
	v_mov_b32_e32 v2, s15
	s_waitcnt vmcnt(0)
	global_atomic_add_x2 v[0:1], v[2:3], off offset:8
.LBB4_1175:
	s_or_b64 exec, exec, s[24:25]
	s_waitcnt vmcnt(0)
	global_load_dwordx2 v[2:3], v[0:1], off offset:16
	s_waitcnt vmcnt(0)
	v_cmp_eq_u64_e32 vcc, 0, v[2:3]
	s_cbranch_vccnz .LBB4_1177
; %bb.1176:
	global_load_dword v0, v[0:1], off offset:24
	v_mov_b32_e32 v1, 0
	s_waitcnt vmcnt(0)
	global_store_dwordx2 v[2:3], v[0:1], off
	v_and_b32_e32 v0, 0xffffff, v0
	v_readfirstlane_b32 m0, v0
	s_sendmsg sendmsg(MSG_INTERRUPT)
.LBB4_1177:
	s_or_b64 exec, exec, s[20:21]
	s_branch .LBB4_1181
.LBB4_1178:                             ;   in Loop: Header=BB4_1181 Depth=1
	s_or_b64 exec, exec, s[20:21]
	v_readfirstlane_b32 s15, v0
	s_cmp_eq_u32 s15, 0
	s_cbranch_scc1 .LBB4_1180
; %bb.1179:                             ;   in Loop: Header=BB4_1181 Depth=1
	s_sleep 1
	s_cbranch_execnz .LBB4_1181
	s_branch .LBB4_1183
.LBB4_1180:
	s_branch .LBB4_1183
.LBB4_1181:                             ; =>This Inner Loop Header: Depth=1
	v_mov_b32_e32 v0, 1
	s_and_saveexec_b64 s[20:21], s[4:5]
	s_cbranch_execz .LBB4_1178
; %bb.1182:                             ;   in Loop: Header=BB4_1181 Depth=1
	global_load_dword v0, v[7:8], off offset:20 glc
	s_waitcnt vmcnt(0)
	buffer_wbinvl1_vol
	v_and_b32_e32 v0, 1, v0
	s_branch .LBB4_1178
.LBB4_1183:
	global_load_dwordx2 v[0:1], v[9:10], off
	s_and_saveexec_b64 s[20:21], s[4:5]
	s_cbranch_execz .LBB4_1186
; %bb.1184:
	v_mov_b32_e32 v8, 0
	global_load_dwordx2 v[4:5], v8, s[6:7] offset:40
	global_load_dwordx2 v[9:10], v8, s[6:7] offset:24 glc
	global_load_dwordx2 v[6:7], v8, s[6:7]
	v_mov_b32_e32 v3, s19
	s_mov_b64 s[4:5], 0
	s_waitcnt vmcnt(2)
	v_add_co_u32_e32 v11, vcc, 1, v4
	v_addc_co_u32_e32 v12, vcc, 0, v5, vcc
	v_add_co_u32_e32 v2, vcc, s18, v11
	v_addc_co_u32_e32 v3, vcc, v12, v3, vcc
	v_cmp_eq_u64_e32 vcc, 0, v[2:3]
	v_cndmask_b32_e32 v3, v3, v12, vcc
	v_cndmask_b32_e32 v2, v2, v11, vcc
	v_and_b32_e32 v5, v3, v5
	v_and_b32_e32 v4, v2, v4
	v_mul_lo_u32 v5, v5, 24
	v_mul_hi_u32 v11, v4, 24
	v_mul_lo_u32 v12, v4, 24
	s_waitcnt vmcnt(1)
	v_mov_b32_e32 v4, v9
	v_add_u32_e32 v5, v11, v5
	s_waitcnt vmcnt(0)
	v_add_co_u32_e32 v6, vcc, v6, v12
	v_addc_co_u32_e32 v7, vcc, v7, v5, vcc
	global_store_dwordx2 v[6:7], v[9:10], off
	v_mov_b32_e32 v5, v10
	s_waitcnt vmcnt(0)
	global_atomic_cmpswap_x2 v[4:5], v8, v[2:5], s[6:7] offset:24 glc
	s_waitcnt vmcnt(0)
	v_cmp_ne_u64_e32 vcc, v[4:5], v[9:10]
	s_and_b64 exec, exec, vcc
	s_cbranch_execz .LBB4_1186
.LBB4_1185:                             ; =>This Inner Loop Header: Depth=1
	s_sleep 1
	global_store_dwordx2 v[6:7], v[4:5], off
	s_waitcnt vmcnt(0)
	global_atomic_cmpswap_x2 v[9:10], v8, v[2:5], s[6:7] offset:24 glc
	s_waitcnt vmcnt(0)
	v_cmp_eq_u64_e32 vcc, v[9:10], v[4:5]
	v_mov_b32_e32 v4, v9
	s_or_b64 s[4:5], vcc, s[4:5]
	v_mov_b32_e32 v5, v10
	s_andn2_b64 exec, exec, s[4:5]
	s_cbranch_execnz .LBB4_1185
.LBB4_1186:
	s_or_b64 exec, exec, s[20:21]
	s_and_b64 vcc, exec, s[16:17]
	s_cbranch_vccz .LBB4_1271
; %bb.1187:
	s_waitcnt vmcnt(0)
	v_and_b32_e32 v33, 2, v0
	v_mov_b32_e32 v28, 0
	v_and_b32_e32 v2, -3, v0
	v_mov_b32_e32 v3, v1
	s_mov_b64 s[18:19], 3
	v_mov_b32_e32 v6, 2
	v_mov_b32_e32 v7, 1
	s_getpc_b64 s[16:17]
	s_add_u32 s16, s16, .str.6@rel32@lo+4
	s_addc_u32 s17, s17, .str.6@rel32@hi+12
	s_branch .LBB4_1189
.LBB4_1188:                             ;   in Loop: Header=BB4_1189 Depth=1
	s_or_b64 exec, exec, s[24:25]
	s_sub_u32 s18, s18, s20
	s_subb_u32 s19, s19, s21
	s_add_u32 s16, s16, s20
	s_addc_u32 s17, s17, s21
	s_cmp_lg_u64 s[18:19], 0
	s_cbranch_scc0 .LBB4_1270
.LBB4_1189:                             ; =>This Loop Header: Depth=1
                                        ;     Child Loop BB4_1192 Depth 2
                                        ;     Child Loop BB4_1199 Depth 2
	;; [unrolled: 1-line block ×11, first 2 shown]
	v_cmp_lt_u64_e64 s[4:5], s[18:19], 56
	v_cmp_gt_u64_e64 s[22:23], s[18:19], 7
	s_and_b64 s[4:5], s[4:5], exec
	s_cselect_b32 s21, s19, 0
	s_cselect_b32 s20, s18, 56
	s_and_b64 vcc, exec, s[22:23]
	s_cbranch_vccnz .LBB4_1194
; %bb.1190:                             ;   in Loop: Header=BB4_1189 Depth=1
	v_mov_b32_e32 v10, 0
	s_cmp_eq_u64 s[18:19], 0
	v_mov_b32_e32 v11, 0
	s_mov_b64 s[4:5], 0
	s_cbranch_scc1 .LBB4_1193
; %bb.1191:                             ;   in Loop: Header=BB4_1189 Depth=1
	v_mov_b32_e32 v10, 0
	s_lshl_b64 s[22:23], s[20:21], 3
	s_mov_b64 s[24:25], 0
	v_mov_b32_e32 v11, 0
	s_mov_b64 s[26:27], s[16:17]
.LBB4_1192:                             ;   Parent Loop BB4_1189 Depth=1
                                        ; =>  This Inner Loop Header: Depth=2
	global_load_ubyte v4, v28, s[26:27]
	s_waitcnt vmcnt(0)
	v_and_b32_e32 v27, 0xffff, v4
	v_lshlrev_b64 v[4:5], s24, v[27:28]
	s_add_u32 s24, s24, 8
	s_addc_u32 s25, s25, 0
	s_add_u32 s26, s26, 1
	s_addc_u32 s27, s27, 0
	v_or_b32_e32 v10, v4, v10
	s_cmp_lg_u32 s22, s24
	v_or_b32_e32 v11, v5, v11
	s_cbranch_scc1 .LBB4_1192
.LBB4_1193:                             ;   in Loop: Header=BB4_1189 Depth=1
	s_mov_b32 s15, 0
	s_andn2_b64 vcc, exec, s[4:5]
	s_mov_b64 s[4:5], s[16:17]
	s_cbranch_vccz .LBB4_1195
	s_branch .LBB4_1196
.LBB4_1194:                             ;   in Loop: Header=BB4_1189 Depth=1
                                        ; implicit-def: $vgpr10_vgpr11
                                        ; implicit-def: $sgpr15
	s_mov_b64 s[4:5], s[16:17]
.LBB4_1195:                             ;   in Loop: Header=BB4_1189 Depth=1
	global_load_dwordx2 v[10:11], v28, s[16:17]
	s_add_i32 s15, s20, -8
	s_add_u32 s4, s16, 8
	s_addc_u32 s5, s17, 0
.LBB4_1196:                             ;   in Loop: Header=BB4_1189 Depth=1
	s_cmp_gt_u32 s15, 7
	s_cbranch_scc1 .LBB4_1200
; %bb.1197:                             ;   in Loop: Header=BB4_1189 Depth=1
	s_cmp_eq_u32 s15, 0
	s_cbranch_scc1 .LBB4_1201
; %bb.1198:                             ;   in Loop: Header=BB4_1189 Depth=1
	v_mov_b32_e32 v12, 0
	s_mov_b64 s[22:23], 0
	v_mov_b32_e32 v13, 0
	s_mov_b64 s[24:25], 0
.LBB4_1199:                             ;   Parent Loop BB4_1189 Depth=1
                                        ; =>  This Inner Loop Header: Depth=2
	s_add_u32 s26, s4, s24
	s_addc_u32 s27, s5, s25
	global_load_ubyte v4, v28, s[26:27]
	s_add_u32 s24, s24, 1
	s_addc_u32 s25, s25, 0
	s_waitcnt vmcnt(0)
	v_and_b32_e32 v27, 0xffff, v4
	v_lshlrev_b64 v[4:5], s22, v[27:28]
	s_add_u32 s22, s22, 8
	s_addc_u32 s23, s23, 0
	v_or_b32_e32 v12, v4, v12
	s_cmp_lg_u32 s15, s24
	v_or_b32_e32 v13, v5, v13
	s_cbranch_scc1 .LBB4_1199
	s_branch .LBB4_1202
.LBB4_1200:                             ;   in Loop: Header=BB4_1189 Depth=1
                                        ; implicit-def: $vgpr12_vgpr13
                                        ; implicit-def: $sgpr26
	s_branch .LBB4_1203
.LBB4_1201:                             ;   in Loop: Header=BB4_1189 Depth=1
	v_mov_b32_e32 v12, 0
	v_mov_b32_e32 v13, 0
.LBB4_1202:                             ;   in Loop: Header=BB4_1189 Depth=1
	s_mov_b32 s26, 0
	s_cbranch_execnz .LBB4_1204
.LBB4_1203:                             ;   in Loop: Header=BB4_1189 Depth=1
	global_load_dwordx2 v[12:13], v28, s[4:5]
	s_add_i32 s26, s15, -8
	s_add_u32 s4, s4, 8
	s_addc_u32 s5, s5, 0
.LBB4_1204:                             ;   in Loop: Header=BB4_1189 Depth=1
	s_cmp_gt_u32 s26, 7
	s_cbranch_scc1 .LBB4_1208
; %bb.1205:                             ;   in Loop: Header=BB4_1189 Depth=1
	s_cmp_eq_u32 s26, 0
	s_cbranch_scc1 .LBB4_1209
; %bb.1206:                             ;   in Loop: Header=BB4_1189 Depth=1
	v_mov_b32_e32 v14, 0
	s_mov_b64 s[22:23], 0
	v_mov_b32_e32 v15, 0
	s_mov_b64 s[24:25], 0
.LBB4_1207:                             ;   Parent Loop BB4_1189 Depth=1
                                        ; =>  This Inner Loop Header: Depth=2
	s_add_u32 s28, s4, s24
	s_addc_u32 s29, s5, s25
	global_load_ubyte v4, v28, s[28:29]
	s_add_u32 s24, s24, 1
	s_addc_u32 s25, s25, 0
	s_waitcnt vmcnt(0)
	v_and_b32_e32 v27, 0xffff, v4
	v_lshlrev_b64 v[4:5], s22, v[27:28]
	s_add_u32 s22, s22, 8
	s_addc_u32 s23, s23, 0
	v_or_b32_e32 v14, v4, v14
	s_cmp_lg_u32 s26, s24
	v_or_b32_e32 v15, v5, v15
	s_cbranch_scc1 .LBB4_1207
	s_branch .LBB4_1210
.LBB4_1208:                             ;   in Loop: Header=BB4_1189 Depth=1
                                        ; implicit-def: $sgpr15
	s_branch .LBB4_1211
.LBB4_1209:                             ;   in Loop: Header=BB4_1189 Depth=1
	v_mov_b32_e32 v14, 0
	v_mov_b32_e32 v15, 0
.LBB4_1210:                             ;   in Loop: Header=BB4_1189 Depth=1
	s_mov_b32 s15, 0
	s_cbranch_execnz .LBB4_1212
.LBB4_1211:                             ;   in Loop: Header=BB4_1189 Depth=1
	global_load_dwordx2 v[14:15], v28, s[4:5]
	s_add_i32 s15, s26, -8
	s_add_u32 s4, s4, 8
	s_addc_u32 s5, s5, 0
.LBB4_1212:                             ;   in Loop: Header=BB4_1189 Depth=1
	s_cmp_gt_u32 s15, 7
	s_cbranch_scc1 .LBB4_1216
; %bb.1213:                             ;   in Loop: Header=BB4_1189 Depth=1
	s_cmp_eq_u32 s15, 0
	s_cbranch_scc1 .LBB4_1217
; %bb.1214:                             ;   in Loop: Header=BB4_1189 Depth=1
	v_mov_b32_e32 v16, 0
	s_mov_b64 s[22:23], 0
	v_mov_b32_e32 v17, 0
	s_mov_b64 s[24:25], 0
.LBB4_1215:                             ;   Parent Loop BB4_1189 Depth=1
                                        ; =>  This Inner Loop Header: Depth=2
	s_add_u32 s26, s4, s24
	s_addc_u32 s27, s5, s25
	global_load_ubyte v4, v28, s[26:27]
	s_add_u32 s24, s24, 1
	s_addc_u32 s25, s25, 0
	s_waitcnt vmcnt(0)
	v_and_b32_e32 v27, 0xffff, v4
	v_lshlrev_b64 v[4:5], s22, v[27:28]
	s_add_u32 s22, s22, 8
	s_addc_u32 s23, s23, 0
	v_or_b32_e32 v16, v4, v16
	s_cmp_lg_u32 s15, s24
	v_or_b32_e32 v17, v5, v17
	s_cbranch_scc1 .LBB4_1215
	s_branch .LBB4_1218
.LBB4_1216:                             ;   in Loop: Header=BB4_1189 Depth=1
                                        ; implicit-def: $vgpr16_vgpr17
                                        ; implicit-def: $sgpr26
	s_branch .LBB4_1219
.LBB4_1217:                             ;   in Loop: Header=BB4_1189 Depth=1
	v_mov_b32_e32 v16, 0
	v_mov_b32_e32 v17, 0
.LBB4_1218:                             ;   in Loop: Header=BB4_1189 Depth=1
	s_mov_b32 s26, 0
	s_cbranch_execnz .LBB4_1220
.LBB4_1219:                             ;   in Loop: Header=BB4_1189 Depth=1
	global_load_dwordx2 v[16:17], v28, s[4:5]
	s_add_i32 s26, s15, -8
	s_add_u32 s4, s4, 8
	s_addc_u32 s5, s5, 0
.LBB4_1220:                             ;   in Loop: Header=BB4_1189 Depth=1
	s_cmp_gt_u32 s26, 7
	s_cbranch_scc1 .LBB4_1224
; %bb.1221:                             ;   in Loop: Header=BB4_1189 Depth=1
	s_cmp_eq_u32 s26, 0
	s_cbranch_scc1 .LBB4_1225
; %bb.1222:                             ;   in Loop: Header=BB4_1189 Depth=1
	v_mov_b32_e32 v18, 0
	s_mov_b64 s[22:23], 0
	v_mov_b32_e32 v19, 0
	s_mov_b64 s[24:25], 0
.LBB4_1223:                             ;   Parent Loop BB4_1189 Depth=1
                                        ; =>  This Inner Loop Header: Depth=2
	s_add_u32 s28, s4, s24
	s_addc_u32 s29, s5, s25
	global_load_ubyte v4, v28, s[28:29]
	s_add_u32 s24, s24, 1
	s_addc_u32 s25, s25, 0
	s_waitcnt vmcnt(0)
	v_and_b32_e32 v27, 0xffff, v4
	v_lshlrev_b64 v[4:5], s22, v[27:28]
	s_add_u32 s22, s22, 8
	s_addc_u32 s23, s23, 0
	v_or_b32_e32 v18, v4, v18
	s_cmp_lg_u32 s26, s24
	v_or_b32_e32 v19, v5, v19
	s_cbranch_scc1 .LBB4_1223
	s_branch .LBB4_1226
.LBB4_1224:                             ;   in Loop: Header=BB4_1189 Depth=1
                                        ; implicit-def: $sgpr15
	s_branch .LBB4_1227
.LBB4_1225:                             ;   in Loop: Header=BB4_1189 Depth=1
	v_mov_b32_e32 v18, 0
	v_mov_b32_e32 v19, 0
.LBB4_1226:                             ;   in Loop: Header=BB4_1189 Depth=1
	s_mov_b32 s15, 0
	s_cbranch_execnz .LBB4_1228
.LBB4_1227:                             ;   in Loop: Header=BB4_1189 Depth=1
	global_load_dwordx2 v[18:19], v28, s[4:5]
	s_add_i32 s15, s26, -8
	s_add_u32 s4, s4, 8
	s_addc_u32 s5, s5, 0
.LBB4_1228:                             ;   in Loop: Header=BB4_1189 Depth=1
	s_cmp_gt_u32 s15, 7
	s_cbranch_scc1 .LBB4_1232
; %bb.1229:                             ;   in Loop: Header=BB4_1189 Depth=1
	s_cmp_eq_u32 s15, 0
	s_cbranch_scc1 .LBB4_1233
; %bb.1230:                             ;   in Loop: Header=BB4_1189 Depth=1
	v_mov_b32_e32 v20, 0
	s_mov_b64 s[22:23], 0
	v_mov_b32_e32 v21, 0
	s_mov_b64 s[24:25], 0
.LBB4_1231:                             ;   Parent Loop BB4_1189 Depth=1
                                        ; =>  This Inner Loop Header: Depth=2
	s_add_u32 s26, s4, s24
	s_addc_u32 s27, s5, s25
	global_load_ubyte v4, v28, s[26:27]
	s_add_u32 s24, s24, 1
	s_addc_u32 s25, s25, 0
	s_waitcnt vmcnt(0)
	v_and_b32_e32 v27, 0xffff, v4
	v_lshlrev_b64 v[4:5], s22, v[27:28]
	s_add_u32 s22, s22, 8
	s_addc_u32 s23, s23, 0
	v_or_b32_e32 v20, v4, v20
	s_cmp_lg_u32 s15, s24
	v_or_b32_e32 v21, v5, v21
	s_cbranch_scc1 .LBB4_1231
	s_branch .LBB4_1234
.LBB4_1232:                             ;   in Loop: Header=BB4_1189 Depth=1
                                        ; implicit-def: $vgpr20_vgpr21
                                        ; implicit-def: $sgpr26
	s_branch .LBB4_1235
.LBB4_1233:                             ;   in Loop: Header=BB4_1189 Depth=1
	v_mov_b32_e32 v20, 0
	v_mov_b32_e32 v21, 0
.LBB4_1234:                             ;   in Loop: Header=BB4_1189 Depth=1
	s_mov_b32 s26, 0
	s_cbranch_execnz .LBB4_1236
.LBB4_1235:                             ;   in Loop: Header=BB4_1189 Depth=1
	global_load_dwordx2 v[20:21], v28, s[4:5]
	s_add_i32 s26, s15, -8
	s_add_u32 s4, s4, 8
	s_addc_u32 s5, s5, 0
.LBB4_1236:                             ;   in Loop: Header=BB4_1189 Depth=1
	s_cmp_gt_u32 s26, 7
	s_cbranch_scc1 .LBB4_1240
; %bb.1237:                             ;   in Loop: Header=BB4_1189 Depth=1
	s_cmp_eq_u32 s26, 0
	s_cbranch_scc1 .LBB4_1241
; %bb.1238:                             ;   in Loop: Header=BB4_1189 Depth=1
	v_mov_b32_e32 v22, 0
	s_mov_b64 s[22:23], 0
	v_mov_b32_e32 v23, 0
	s_mov_b64 s[24:25], s[4:5]
.LBB4_1239:                             ;   Parent Loop BB4_1189 Depth=1
                                        ; =>  This Inner Loop Header: Depth=2
	global_load_ubyte v4, v28, s[24:25]
	s_add_i32 s26, s26, -1
	s_waitcnt vmcnt(0)
	v_and_b32_e32 v27, 0xffff, v4
	v_lshlrev_b64 v[4:5], s22, v[27:28]
	s_add_u32 s22, s22, 8
	s_addc_u32 s23, s23, 0
	s_add_u32 s24, s24, 1
	s_addc_u32 s25, s25, 0
	v_or_b32_e32 v22, v4, v22
	s_cmp_lg_u32 s26, 0
	v_or_b32_e32 v23, v5, v23
	s_cbranch_scc1 .LBB4_1239
	s_branch .LBB4_1242
.LBB4_1240:                             ;   in Loop: Header=BB4_1189 Depth=1
	s_branch .LBB4_1243
.LBB4_1241:                             ;   in Loop: Header=BB4_1189 Depth=1
	v_mov_b32_e32 v22, 0
	v_mov_b32_e32 v23, 0
.LBB4_1242:                             ;   in Loop: Header=BB4_1189 Depth=1
	s_cbranch_execnz .LBB4_1244
.LBB4_1243:                             ;   in Loop: Header=BB4_1189 Depth=1
	global_load_dwordx2 v[22:23], v28, s[4:5]
.LBB4_1244:                             ;   in Loop: Header=BB4_1189 Depth=1
	v_readfirstlane_b32 s4, v32
	s_waitcnt vmcnt(0)
	v_mov_b32_e32 v4, 0
	v_mov_b32_e32 v5, 0
	v_cmp_eq_u32_e64 s[4:5], s4, v32
	s_and_saveexec_b64 s[22:23], s[4:5]
	s_cbranch_execz .LBB4_1250
; %bb.1245:                             ;   in Loop: Header=BB4_1189 Depth=1
	global_load_dwordx2 v[26:27], v28, s[6:7] offset:24 glc
	s_waitcnt vmcnt(0)
	buffer_wbinvl1_vol
	global_load_dwordx2 v[4:5], v28, s[6:7] offset:40
	global_load_dwordx2 v[8:9], v28, s[6:7]
	s_waitcnt vmcnt(1)
	v_and_b32_e32 v4, v4, v26
	v_and_b32_e32 v5, v5, v27
	v_mul_lo_u32 v5, v5, 24
	v_mul_hi_u32 v24, v4, 24
	v_mul_lo_u32 v4, v4, 24
	v_add_u32_e32 v5, v24, v5
	s_waitcnt vmcnt(0)
	v_add_co_u32_e32 v4, vcc, v8, v4
	v_addc_co_u32_e32 v5, vcc, v9, v5, vcc
	global_load_dwordx2 v[24:25], v[4:5], off glc
	s_waitcnt vmcnt(0)
	global_atomic_cmpswap_x2 v[4:5], v28, v[24:27], s[6:7] offset:24 glc
	s_waitcnt vmcnt(0)
	buffer_wbinvl1_vol
	v_cmp_ne_u64_e32 vcc, v[4:5], v[26:27]
	s_and_saveexec_b64 s[24:25], vcc
	s_cbranch_execz .LBB4_1249
; %bb.1246:                             ;   in Loop: Header=BB4_1189 Depth=1
	s_mov_b64 s[26:27], 0
.LBB4_1247:                             ;   Parent Loop BB4_1189 Depth=1
                                        ; =>  This Inner Loop Header: Depth=2
	s_sleep 1
	global_load_dwordx2 v[8:9], v28, s[6:7] offset:40
	global_load_dwordx2 v[24:25], v28, s[6:7]
	v_mov_b32_e32 v27, v5
	v_mov_b32_e32 v26, v4
	s_waitcnt vmcnt(1)
	v_and_b32_e32 v4, v8, v26
	s_waitcnt vmcnt(0)
	v_mad_u64_u32 v[4:5], s[28:29], v4, 24, v[24:25]
	v_and_b32_e32 v8, v9, v27
	v_mad_u64_u32 v[8:9], s[28:29], v8, 24, v[5:6]
	v_mov_b32_e32 v5, v8
	global_load_dwordx2 v[24:25], v[4:5], off glc
	s_waitcnt vmcnt(0)
	global_atomic_cmpswap_x2 v[4:5], v28, v[24:27], s[6:7] offset:24 glc
	s_waitcnt vmcnt(0)
	buffer_wbinvl1_vol
	v_cmp_eq_u64_e32 vcc, v[4:5], v[26:27]
	s_or_b64 s[26:27], vcc, s[26:27]
	s_andn2_b64 exec, exec, s[26:27]
	s_cbranch_execnz .LBB4_1247
; %bb.1248:                             ;   in Loop: Header=BB4_1189 Depth=1
	s_or_b64 exec, exec, s[26:27]
.LBB4_1249:                             ;   in Loop: Header=BB4_1189 Depth=1
	s_or_b64 exec, exec, s[24:25]
.LBB4_1250:                             ;   in Loop: Header=BB4_1189 Depth=1
	s_or_b64 exec, exec, s[22:23]
	global_load_dwordx2 v[8:9], v28, s[6:7] offset:40
	global_load_dwordx4 v[24:27], v28, s[6:7]
	v_readfirstlane_b32 s22, v4
	v_readfirstlane_b32 s23, v5
	s_mov_b64 s[24:25], exec
	s_waitcnt vmcnt(1)
	v_readfirstlane_b32 s26, v8
	v_readfirstlane_b32 s27, v9
	s_and_b64 s[26:27], s[22:23], s[26:27]
	s_mul_i32 s15, s27, 24
	s_mul_hi_u32 s28, s26, 24
	s_mul_i32 s29, s26, 24
	s_add_i32 s15, s28, s15
	v_mov_b32_e32 v4, s15
	s_waitcnt vmcnt(0)
	v_add_co_u32_e32 v29, vcc, s29, v24
	v_addc_co_u32_e32 v30, vcc, v25, v4, vcc
	s_and_saveexec_b64 s[28:29], s[4:5]
	s_cbranch_execz .LBB4_1252
; %bb.1251:                             ;   in Loop: Header=BB4_1189 Depth=1
	v_mov_b32_e32 v4, s24
	v_mov_b32_e32 v5, s25
	global_store_dwordx4 v[29:30], v[4:7], off offset:8
.LBB4_1252:                             ;   in Loop: Header=BB4_1189 Depth=1
	s_or_b64 exec, exec, s[28:29]
	s_lshl_b64 s[24:25], s[26:27], 12
	v_mov_b32_e32 v4, s25
	v_add_co_u32_e32 v26, vcc, s24, v26
	v_addc_co_u32_e32 v34, vcc, v27, v4, vcc
	v_cmp_gt_u64_e64 vcc, s[18:19], 56
	v_or_b32_e32 v5, v2, v33
	s_lshl_b32 s15, s20, 2
	v_cndmask_b32_e32 v2, v5, v2, vcc
	s_add_i32 s15, s15, 28
	v_or_b32_e32 v4, 0, v3
	s_and_b32 s15, s15, 0x1e0
	v_and_b32_e32 v2, 0xffffff1f, v2
	v_cndmask_b32_e32 v9, v4, v3, vcc
	v_or_b32_e32 v8, s15, v2
	v_readfirstlane_b32 s24, v26
	v_readfirstlane_b32 s25, v34
	s_nop 4
	global_store_dwordx4 v31, v[8:11], s[24:25]
	global_store_dwordx4 v31, v[12:15], s[24:25] offset:16
	global_store_dwordx4 v31, v[16:19], s[24:25] offset:32
	;; [unrolled: 1-line block ×3, first 2 shown]
	s_and_saveexec_b64 s[24:25], s[4:5]
	s_cbranch_execz .LBB4_1260
; %bb.1253:                             ;   in Loop: Header=BB4_1189 Depth=1
	global_load_dwordx2 v[12:13], v28, s[6:7] offset:32 glc
	global_load_dwordx2 v[2:3], v28, s[6:7] offset:40
	v_mov_b32_e32 v10, s22
	v_mov_b32_e32 v11, s23
	s_waitcnt vmcnt(0)
	v_readfirstlane_b32 s26, v2
	v_readfirstlane_b32 s27, v3
	s_and_b64 s[26:27], s[26:27], s[22:23]
	s_mul_i32 s15, s27, 24
	s_mul_hi_u32 s27, s26, 24
	s_mul_i32 s26, s26, 24
	s_add_i32 s15, s27, s15
	v_mov_b32_e32 v2, s15
	v_add_co_u32_e32 v8, vcc, s26, v24
	v_addc_co_u32_e32 v9, vcc, v25, v2, vcc
	global_store_dwordx2 v[8:9], v[12:13], off
	s_waitcnt vmcnt(0)
	global_atomic_cmpswap_x2 v[4:5], v28, v[10:13], s[6:7] offset:32 glc
	s_waitcnt vmcnt(0)
	v_cmp_ne_u64_e32 vcc, v[4:5], v[12:13]
	s_and_saveexec_b64 s[26:27], vcc
	s_cbranch_execz .LBB4_1256
; %bb.1254:                             ;   in Loop: Header=BB4_1189 Depth=1
	s_mov_b64 s[28:29], 0
.LBB4_1255:                             ;   Parent Loop BB4_1189 Depth=1
                                        ; =>  This Inner Loop Header: Depth=2
	s_sleep 1
	global_store_dwordx2 v[8:9], v[4:5], off
	v_mov_b32_e32 v2, s22
	v_mov_b32_e32 v3, s23
	s_waitcnt vmcnt(0)
	global_atomic_cmpswap_x2 v[2:3], v28, v[2:5], s[6:7] offset:32 glc
	s_waitcnt vmcnt(0)
	v_cmp_eq_u64_e32 vcc, v[2:3], v[4:5]
	v_mov_b32_e32 v5, v3
	s_or_b64 s[28:29], vcc, s[28:29]
	v_mov_b32_e32 v4, v2
	s_andn2_b64 exec, exec, s[28:29]
	s_cbranch_execnz .LBB4_1255
.LBB4_1256:                             ;   in Loop: Header=BB4_1189 Depth=1
	s_or_b64 exec, exec, s[26:27]
	global_load_dwordx2 v[2:3], v28, s[6:7] offset:16
	s_mov_b64 s[28:29], exec
	v_mbcnt_lo_u32_b32 v4, s28, 0
	v_mbcnt_hi_u32_b32 v4, s29, v4
	v_cmp_eq_u32_e32 vcc, 0, v4
	s_and_saveexec_b64 s[26:27], vcc
	s_cbranch_execz .LBB4_1258
; %bb.1257:                             ;   in Loop: Header=BB4_1189 Depth=1
	s_bcnt1_i32_b64 s15, s[28:29]
	v_mov_b32_e32 v27, s15
	s_waitcnt vmcnt(0)
	global_atomic_add_x2 v[2:3], v[27:28], off offset:8
.LBB4_1258:                             ;   in Loop: Header=BB4_1189 Depth=1
	s_or_b64 exec, exec, s[26:27]
	s_waitcnt vmcnt(0)
	global_load_dwordx2 v[4:5], v[2:3], off offset:16
	s_waitcnt vmcnt(0)
	v_cmp_eq_u64_e32 vcc, 0, v[4:5]
	s_cbranch_vccnz .LBB4_1260
; %bb.1259:                             ;   in Loop: Header=BB4_1189 Depth=1
	global_load_dword v27, v[2:3], off offset:24
	s_waitcnt vmcnt(0)
	v_and_b32_e32 v2, 0xffffff, v27
	v_readfirstlane_b32 m0, v2
	global_store_dwordx2 v[4:5], v[27:28], off
	s_sendmsg sendmsg(MSG_INTERRUPT)
.LBB4_1260:                             ;   in Loop: Header=BB4_1189 Depth=1
	s_or_b64 exec, exec, s[24:25]
	v_add_co_u32_e32 v2, vcc, v26, v31
	v_addc_co_u32_e32 v3, vcc, 0, v34, vcc
	s_branch .LBB4_1264
.LBB4_1261:                             ;   in Loop: Header=BB4_1264 Depth=2
	s_or_b64 exec, exec, s[24:25]
	v_readfirstlane_b32 s15, v4
	s_cmp_eq_u32 s15, 0
	s_cbranch_scc1 .LBB4_1263
; %bb.1262:                             ;   in Loop: Header=BB4_1264 Depth=2
	s_sleep 1
	s_cbranch_execnz .LBB4_1264
	s_branch .LBB4_1266
.LBB4_1263:                             ;   in Loop: Header=BB4_1189 Depth=1
	s_branch .LBB4_1266
.LBB4_1264:                             ;   Parent Loop BB4_1189 Depth=1
                                        ; =>  This Inner Loop Header: Depth=2
	v_mov_b32_e32 v4, 1
	s_and_saveexec_b64 s[24:25], s[4:5]
	s_cbranch_execz .LBB4_1261
; %bb.1265:                             ;   in Loop: Header=BB4_1264 Depth=2
	global_load_dword v4, v[29:30], off offset:20 glc
	s_waitcnt vmcnt(0)
	buffer_wbinvl1_vol
	v_and_b32_e32 v4, 1, v4
	s_branch .LBB4_1261
.LBB4_1266:                             ;   in Loop: Header=BB4_1189 Depth=1
	global_load_dwordx4 v[2:5], v[2:3], off
	s_and_saveexec_b64 s[24:25], s[4:5]
	s_cbranch_execz .LBB4_1188
; %bb.1267:                             ;   in Loop: Header=BB4_1189 Depth=1
	global_load_dwordx2 v[4:5], v28, s[6:7] offset:40
	global_load_dwordx2 v[12:13], v28, s[6:7] offset:24 glc
	global_load_dwordx2 v[14:15], v28, s[6:7]
	v_mov_b32_e32 v9, s23
	s_waitcnt vmcnt(2)
	v_add_co_u32_e32 v10, vcc, 1, v4
	v_addc_co_u32_e32 v11, vcc, 0, v5, vcc
	v_add_co_u32_e32 v8, vcc, s22, v10
	v_addc_co_u32_e32 v9, vcc, v11, v9, vcc
	v_cmp_eq_u64_e32 vcc, 0, v[8:9]
	v_cndmask_b32_e32 v9, v9, v11, vcc
	v_cndmask_b32_e32 v8, v8, v10, vcc
	v_and_b32_e32 v5, v9, v5
	v_and_b32_e32 v4, v8, v4
	v_mul_lo_u32 v5, v5, 24
	v_mul_hi_u32 v11, v4, 24
	v_mul_lo_u32 v4, v4, 24
	s_waitcnt vmcnt(1)
	v_mov_b32_e32 v10, v12
	v_add_u32_e32 v5, v11, v5
	s_waitcnt vmcnt(0)
	v_add_co_u32_e32 v4, vcc, v14, v4
	v_addc_co_u32_e32 v5, vcc, v15, v5, vcc
	global_store_dwordx2 v[4:5], v[12:13], off
	v_mov_b32_e32 v11, v13
	s_waitcnt vmcnt(0)
	global_atomic_cmpswap_x2 v[10:11], v28, v[8:11], s[6:7] offset:24 glc
	s_waitcnt vmcnt(0)
	v_cmp_ne_u64_e32 vcc, v[10:11], v[12:13]
	s_and_b64 exec, exec, vcc
	s_cbranch_execz .LBB4_1188
; %bb.1268:                             ;   in Loop: Header=BB4_1189 Depth=1
	s_mov_b64 s[4:5], 0
.LBB4_1269:                             ;   Parent Loop BB4_1189 Depth=1
                                        ; =>  This Inner Loop Header: Depth=2
	s_sleep 1
	global_store_dwordx2 v[4:5], v[10:11], off
	s_waitcnt vmcnt(0)
	global_atomic_cmpswap_x2 v[12:13], v28, v[8:11], s[6:7] offset:24 glc
	s_waitcnt vmcnt(0)
	v_cmp_eq_u64_e32 vcc, v[12:13], v[10:11]
	v_mov_b32_e32 v10, v12
	s_or_b64 s[4:5], vcc, s[4:5]
	v_mov_b32_e32 v11, v13
	s_andn2_b64 exec, exec, s[4:5]
	s_cbranch_execnz .LBB4_1269
	s_branch .LBB4_1188
.LBB4_1270:
	s_branch .LBB4_1298
.LBB4_1271:
                                        ; implicit-def: $vgpr2_vgpr3
	s_cbranch_execz .LBB4_1298
; %bb.1272:
	v_readfirstlane_b32 s4, v32
	v_mov_b32_e32 v8, 0
	v_mov_b32_e32 v9, 0
	v_cmp_eq_u32_e64 s[4:5], s4, v32
	s_and_saveexec_b64 s[16:17], s[4:5]
	s_cbranch_execz .LBB4_1278
; %bb.1273:
	s_waitcnt vmcnt(0)
	v_mov_b32_e32 v2, 0
	global_load_dwordx2 v[5:6], v2, s[6:7] offset:24 glc
	s_waitcnt vmcnt(0)
	buffer_wbinvl1_vol
	global_load_dwordx2 v[3:4], v2, s[6:7] offset:40
	global_load_dwordx2 v[7:8], v2, s[6:7]
	s_waitcnt vmcnt(1)
	v_and_b32_e32 v3, v3, v5
	v_and_b32_e32 v4, v4, v6
	v_mul_lo_u32 v4, v4, 24
	v_mul_hi_u32 v9, v3, 24
	v_mul_lo_u32 v3, v3, 24
	v_add_u32_e32 v4, v9, v4
	s_waitcnt vmcnt(0)
	v_add_co_u32_e32 v3, vcc, v7, v3
	v_addc_co_u32_e32 v4, vcc, v8, v4, vcc
	global_load_dwordx2 v[3:4], v[3:4], off glc
	s_waitcnt vmcnt(0)
	global_atomic_cmpswap_x2 v[8:9], v2, v[3:6], s[6:7] offset:24 glc
	s_waitcnt vmcnt(0)
	buffer_wbinvl1_vol
	v_cmp_ne_u64_e32 vcc, v[8:9], v[5:6]
	s_and_saveexec_b64 s[18:19], vcc
	s_cbranch_execz .LBB4_1277
; %bb.1274:
	s_mov_b64 s[20:21], 0
.LBB4_1275:                             ; =>This Inner Loop Header: Depth=1
	s_sleep 1
	global_load_dwordx2 v[3:4], v2, s[6:7] offset:40
	global_load_dwordx2 v[10:11], v2, s[6:7]
	v_mov_b32_e32 v5, v8
	v_mov_b32_e32 v6, v9
	s_waitcnt vmcnt(1)
	v_and_b32_e32 v3, v3, v5
	s_waitcnt vmcnt(0)
	v_mad_u64_u32 v[7:8], s[22:23], v3, 24, v[10:11]
	v_and_b32_e32 v4, v4, v6
	v_mov_b32_e32 v3, v8
	v_mad_u64_u32 v[3:4], s[22:23], v4, 24, v[3:4]
	v_mov_b32_e32 v8, v3
	global_load_dwordx2 v[3:4], v[7:8], off glc
	s_waitcnt vmcnt(0)
	global_atomic_cmpswap_x2 v[8:9], v2, v[3:6], s[6:7] offset:24 glc
	s_waitcnt vmcnt(0)
	buffer_wbinvl1_vol
	v_cmp_eq_u64_e32 vcc, v[8:9], v[5:6]
	s_or_b64 s[20:21], vcc, s[20:21]
	s_andn2_b64 exec, exec, s[20:21]
	s_cbranch_execnz .LBB4_1275
; %bb.1276:
	s_or_b64 exec, exec, s[20:21]
.LBB4_1277:
	s_or_b64 exec, exec, s[18:19]
.LBB4_1278:
	s_or_b64 exec, exec, s[16:17]
	s_waitcnt vmcnt(0)
	v_mov_b32_e32 v2, 0
	global_load_dwordx2 v[10:11], v2, s[6:7] offset:40
	global_load_dwordx4 v[4:7], v2, s[6:7]
	v_readfirstlane_b32 s16, v8
	v_readfirstlane_b32 s17, v9
	s_mov_b64 s[18:19], exec
	s_waitcnt vmcnt(1)
	v_readfirstlane_b32 s20, v10
	v_readfirstlane_b32 s21, v11
	s_and_b64 s[20:21], s[16:17], s[20:21]
	s_mul_i32 s15, s21, 24
	s_mul_hi_u32 s22, s20, 24
	s_mul_i32 s23, s20, 24
	s_add_i32 s15, s22, s15
	v_mov_b32_e32 v3, s15
	s_waitcnt vmcnt(0)
	v_add_co_u32_e32 v8, vcc, s23, v4
	v_addc_co_u32_e32 v9, vcc, v5, v3, vcc
	s_and_saveexec_b64 s[22:23], s[4:5]
	s_cbranch_execz .LBB4_1280
; %bb.1279:
	v_mov_b32_e32 v10, s18
	v_mov_b32_e32 v11, s19
	;; [unrolled: 1-line block ×4, first 2 shown]
	global_store_dwordx4 v[8:9], v[10:13], off offset:8
.LBB4_1280:
	s_or_b64 exec, exec, s[22:23]
	s_lshl_b64 s[18:19], s[20:21], 12
	v_mov_b32_e32 v3, s19
	v_add_co_u32_e32 v10, vcc, s18, v6
	v_addc_co_u32_e32 v11, vcc, v7, v3, vcc
	s_movk_i32 s15, 0xff1f
	v_and_or_b32 v0, v0, s15, 32
	s_mov_b32 s20, 0
	v_mov_b32_e32 v3, v2
	v_readfirstlane_b32 s18, v10
	v_readfirstlane_b32 s19, v11
	v_add_co_u32_e32 v6, vcc, v10, v31
	s_mov_b32 s21, s20
	s_mov_b32 s22, s20
	;; [unrolled: 1-line block ×3, first 2 shown]
	s_nop 0
	global_store_dwordx4 v31, v[0:3], s[18:19]
	v_addc_co_u32_e32 v7, vcc, 0, v11, vcc
	v_mov_b32_e32 v0, s20
	v_mov_b32_e32 v1, s21
	;; [unrolled: 1-line block ×4, first 2 shown]
	global_store_dwordx4 v31, v[0:3], s[18:19] offset:16
	global_store_dwordx4 v31, v[0:3], s[18:19] offset:32
	global_store_dwordx4 v31, v[0:3], s[18:19] offset:48
	s_and_saveexec_b64 s[18:19], s[4:5]
	s_cbranch_execz .LBB4_1288
; %bb.1281:
	v_mov_b32_e32 v10, 0
	global_load_dwordx2 v[13:14], v10, s[6:7] offset:32 glc
	global_load_dwordx2 v[0:1], v10, s[6:7] offset:40
	v_mov_b32_e32 v11, s16
	v_mov_b32_e32 v12, s17
	s_waitcnt vmcnt(0)
	v_readfirstlane_b32 s20, v0
	v_readfirstlane_b32 s21, v1
	s_and_b64 s[20:21], s[20:21], s[16:17]
	s_mul_i32 s15, s21, 24
	s_mul_hi_u32 s21, s20, 24
	s_mul_i32 s20, s20, 24
	s_add_i32 s15, s21, s15
	v_mov_b32_e32 v0, s15
	v_add_co_u32_e32 v4, vcc, s20, v4
	v_addc_co_u32_e32 v5, vcc, v5, v0, vcc
	global_store_dwordx2 v[4:5], v[13:14], off
	s_waitcnt vmcnt(0)
	global_atomic_cmpswap_x2 v[2:3], v10, v[11:14], s[6:7] offset:32 glc
	s_waitcnt vmcnt(0)
	v_cmp_ne_u64_e32 vcc, v[2:3], v[13:14]
	s_and_saveexec_b64 s[20:21], vcc
	s_cbranch_execz .LBB4_1284
; %bb.1282:
	s_mov_b64 s[22:23], 0
.LBB4_1283:                             ; =>This Inner Loop Header: Depth=1
	s_sleep 1
	global_store_dwordx2 v[4:5], v[2:3], off
	v_mov_b32_e32 v0, s16
	v_mov_b32_e32 v1, s17
	s_waitcnt vmcnt(0)
	global_atomic_cmpswap_x2 v[0:1], v10, v[0:3], s[6:7] offset:32 glc
	s_waitcnt vmcnt(0)
	v_cmp_eq_u64_e32 vcc, v[0:1], v[2:3]
	v_mov_b32_e32 v3, v1
	s_or_b64 s[22:23], vcc, s[22:23]
	v_mov_b32_e32 v2, v0
	s_andn2_b64 exec, exec, s[22:23]
	s_cbranch_execnz .LBB4_1283
.LBB4_1284:
	s_or_b64 exec, exec, s[20:21]
	v_mov_b32_e32 v3, 0
	global_load_dwordx2 v[0:1], v3, s[6:7] offset:16
	s_mov_b64 s[20:21], exec
	v_mbcnt_lo_u32_b32 v2, s20, 0
	v_mbcnt_hi_u32_b32 v2, s21, v2
	v_cmp_eq_u32_e32 vcc, 0, v2
	s_and_saveexec_b64 s[22:23], vcc
	s_cbranch_execz .LBB4_1286
; %bb.1285:
	s_bcnt1_i32_b64 s15, s[20:21]
	v_mov_b32_e32 v2, s15
	s_waitcnt vmcnt(0)
	global_atomic_add_x2 v[0:1], v[2:3], off offset:8
.LBB4_1286:
	s_or_b64 exec, exec, s[22:23]
	s_waitcnt vmcnt(0)
	global_load_dwordx2 v[2:3], v[0:1], off offset:16
	s_waitcnt vmcnt(0)
	v_cmp_eq_u64_e32 vcc, 0, v[2:3]
	s_cbranch_vccnz .LBB4_1288
; %bb.1287:
	global_load_dword v0, v[0:1], off offset:24
	v_mov_b32_e32 v1, 0
	s_waitcnt vmcnt(0)
	global_store_dwordx2 v[2:3], v[0:1], off
	v_and_b32_e32 v0, 0xffffff, v0
	v_readfirstlane_b32 m0, v0
	s_sendmsg sendmsg(MSG_INTERRUPT)
.LBB4_1288:
	s_or_b64 exec, exec, s[18:19]
	s_branch .LBB4_1292
.LBB4_1289:                             ;   in Loop: Header=BB4_1292 Depth=1
	s_or_b64 exec, exec, s[18:19]
	v_readfirstlane_b32 s15, v0
	s_cmp_eq_u32 s15, 0
	s_cbranch_scc1 .LBB4_1291
; %bb.1290:                             ;   in Loop: Header=BB4_1292 Depth=1
	s_sleep 1
	s_cbranch_execnz .LBB4_1292
	s_branch .LBB4_1294
.LBB4_1291:
	s_branch .LBB4_1294
.LBB4_1292:                             ; =>This Inner Loop Header: Depth=1
	v_mov_b32_e32 v0, 1
	s_and_saveexec_b64 s[18:19], s[4:5]
	s_cbranch_execz .LBB4_1289
; %bb.1293:                             ;   in Loop: Header=BB4_1292 Depth=1
	global_load_dword v0, v[8:9], off offset:20 glc
	s_waitcnt vmcnt(0)
	buffer_wbinvl1_vol
	v_and_b32_e32 v0, 1, v0
	s_branch .LBB4_1289
.LBB4_1294:
	global_load_dwordx2 v[2:3], v[6:7], off
	s_and_saveexec_b64 s[18:19], s[4:5]
	s_cbranch_execz .LBB4_1297
; %bb.1295:
	v_mov_b32_e32 v8, 0
	global_load_dwordx2 v[0:1], v8, s[6:7] offset:40
	global_load_dwordx2 v[9:10], v8, s[6:7] offset:24 glc
	global_load_dwordx2 v[11:12], v8, s[6:7]
	v_mov_b32_e32 v5, s17
	s_mov_b64 s[4:5], 0
	s_waitcnt vmcnt(2)
	v_add_co_u32_e32 v6, vcc, 1, v0
	v_addc_co_u32_e32 v7, vcc, 0, v1, vcc
	v_add_co_u32_e32 v4, vcc, s16, v6
	v_addc_co_u32_e32 v5, vcc, v7, v5, vcc
	v_cmp_eq_u64_e32 vcc, 0, v[4:5]
	v_cndmask_b32_e32 v5, v5, v7, vcc
	v_cndmask_b32_e32 v4, v4, v6, vcc
	v_and_b32_e32 v1, v5, v1
	v_and_b32_e32 v0, v4, v0
	v_mul_lo_u32 v1, v1, 24
	v_mul_hi_u32 v7, v0, 24
	v_mul_lo_u32 v0, v0, 24
	s_waitcnt vmcnt(1)
	v_mov_b32_e32 v6, v9
	v_add_u32_e32 v1, v7, v1
	s_waitcnt vmcnt(0)
	v_add_co_u32_e32 v0, vcc, v11, v0
	v_addc_co_u32_e32 v1, vcc, v12, v1, vcc
	global_store_dwordx2 v[0:1], v[9:10], off
	v_mov_b32_e32 v7, v10
	s_waitcnt vmcnt(0)
	global_atomic_cmpswap_x2 v[6:7], v8, v[4:7], s[6:7] offset:24 glc
	s_waitcnt vmcnt(0)
	v_cmp_ne_u64_e32 vcc, v[6:7], v[9:10]
	s_and_b64 exec, exec, vcc
	s_cbranch_execz .LBB4_1297
.LBB4_1296:                             ; =>This Inner Loop Header: Depth=1
	s_sleep 1
	global_store_dwordx2 v[0:1], v[6:7], off
	s_waitcnt vmcnt(0)
	global_atomic_cmpswap_x2 v[9:10], v8, v[4:7], s[6:7] offset:24 glc
	s_waitcnt vmcnt(0)
	v_cmp_eq_u64_e32 vcc, v[9:10], v[6:7]
	v_mov_b32_e32 v6, v9
	s_or_b64 s[4:5], vcc, s[4:5]
	v_mov_b32_e32 v7, v10
	s_andn2_b64 exec, exec, s[4:5]
	s_cbranch_execnz .LBB4_1296
.LBB4_1297:
	s_or_b64 exec, exec, s[18:19]
.LBB4_1298:
	v_readfirstlane_b32 s4, v32
	s_waitcnt vmcnt(0)
	v_mov_b32_e32 v0, 0
	v_mov_b32_e32 v1, 0
	v_cmp_eq_u32_e64 s[4:5], s4, v32
	s_and_saveexec_b64 s[16:17], s[4:5]
	s_cbranch_execz .LBB4_1304
; %bb.1299:
	v_mov_b32_e32 v4, 0
	global_load_dwordx2 v[7:8], v4, s[6:7] offset:24 glc
	s_waitcnt vmcnt(0)
	buffer_wbinvl1_vol
	global_load_dwordx2 v[0:1], v4, s[6:7] offset:40
	global_load_dwordx2 v[5:6], v4, s[6:7]
	s_waitcnt vmcnt(1)
	v_and_b32_e32 v0, v0, v7
	v_and_b32_e32 v1, v1, v8
	v_mul_lo_u32 v1, v1, 24
	v_mul_hi_u32 v9, v0, 24
	v_mul_lo_u32 v0, v0, 24
	v_add_u32_e32 v1, v9, v1
	s_waitcnt vmcnt(0)
	v_add_co_u32_e32 v0, vcc, v5, v0
	v_addc_co_u32_e32 v1, vcc, v6, v1, vcc
	global_load_dwordx2 v[5:6], v[0:1], off glc
	s_waitcnt vmcnt(0)
	global_atomic_cmpswap_x2 v[0:1], v4, v[5:8], s[6:7] offset:24 glc
	s_waitcnt vmcnt(0)
	buffer_wbinvl1_vol
	v_cmp_ne_u64_e32 vcc, v[0:1], v[7:8]
	s_and_saveexec_b64 s[18:19], vcc
	s_cbranch_execz .LBB4_1303
; %bb.1300:
	s_mov_b64 s[20:21], 0
.LBB4_1301:                             ; =>This Inner Loop Header: Depth=1
	s_sleep 1
	global_load_dwordx2 v[5:6], v4, s[6:7] offset:40
	global_load_dwordx2 v[9:10], v4, s[6:7]
	v_mov_b32_e32 v8, v1
	v_mov_b32_e32 v7, v0
	s_waitcnt vmcnt(1)
	v_and_b32_e32 v0, v5, v7
	s_waitcnt vmcnt(0)
	v_mad_u64_u32 v[0:1], s[22:23], v0, 24, v[9:10]
	v_and_b32_e32 v5, v6, v8
	v_mad_u64_u32 v[5:6], s[22:23], v5, 24, v[1:2]
	v_mov_b32_e32 v1, v5
	global_load_dwordx2 v[5:6], v[0:1], off glc
	s_waitcnt vmcnt(0)
	global_atomic_cmpswap_x2 v[0:1], v4, v[5:8], s[6:7] offset:24 glc
	s_waitcnt vmcnt(0)
	buffer_wbinvl1_vol
	v_cmp_eq_u64_e32 vcc, v[0:1], v[7:8]
	s_or_b64 s[20:21], vcc, s[20:21]
	s_andn2_b64 exec, exec, s[20:21]
	s_cbranch_execnz .LBB4_1301
; %bb.1302:
	s_or_b64 exec, exec, s[20:21]
.LBB4_1303:
	s_or_b64 exec, exec, s[18:19]
.LBB4_1304:
	s_or_b64 exec, exec, s[16:17]
	v_mov_b32_e32 v5, 0
	global_load_dwordx2 v[10:11], v5, s[6:7] offset:40
	global_load_dwordx4 v[6:9], v5, s[6:7]
	v_readfirstlane_b32 s16, v0
	v_readfirstlane_b32 s17, v1
	s_mov_b64 s[18:19], exec
	s_waitcnt vmcnt(1)
	v_readfirstlane_b32 s20, v10
	v_readfirstlane_b32 s21, v11
	s_and_b64 s[20:21], s[16:17], s[20:21]
	s_mul_i32 s15, s21, 24
	s_mul_hi_u32 s22, s20, 24
	s_mul_i32 s23, s20, 24
	s_add_i32 s15, s22, s15
	v_mov_b32_e32 v0, s15
	s_waitcnt vmcnt(0)
	v_add_co_u32_e32 v10, vcc, s23, v6
	v_addc_co_u32_e32 v11, vcc, v7, v0, vcc
	s_and_saveexec_b64 s[22:23], s[4:5]
	s_cbranch_execz .LBB4_1306
; %bb.1305:
	v_mov_b32_e32 v12, s18
	v_mov_b32_e32 v13, s19
	;; [unrolled: 1-line block ×4, first 2 shown]
	global_store_dwordx4 v[10:11], v[12:15], off offset:8
.LBB4_1306:
	s_or_b64 exec, exec, s[22:23]
	s_lshl_b64 s[18:19], s[20:21], 12
	v_mov_b32_e32 v0, s19
	v_add_co_u32_e32 v1, vcc, s18, v8
	v_addc_co_u32_e32 v0, vcc, v9, v0, vcc
	s_movk_i32 s15, 0xff1d
	v_and_or_b32 v2, v2, s15, 34
	s_mov_b32 s20, 0
	v_mov_b32_e32 v4, 10
	v_readfirstlane_b32 s18, v1
	v_readfirstlane_b32 s19, v0
	s_mov_b32 s21, s20
	s_mov_b32 s22, s20
	s_mov_b32 s23, s20
	s_nop 1
	global_store_dwordx4 v31, v[2:5], s[18:19]
	v_mov_b32_e32 v0, s20
	v_mov_b32_e32 v1, s21
	;; [unrolled: 1-line block ×4, first 2 shown]
	global_store_dwordx4 v31, v[0:3], s[18:19] offset:16
	global_store_dwordx4 v31, v[0:3], s[18:19] offset:32
	;; [unrolled: 1-line block ×3, first 2 shown]
	s_and_saveexec_b64 s[18:19], s[4:5]
	s_cbranch_execz .LBB4_1314
; %bb.1307:
	v_mov_b32_e32 v8, 0
	global_load_dwordx2 v[14:15], v8, s[6:7] offset:32 glc
	global_load_dwordx2 v[0:1], v8, s[6:7] offset:40
	v_mov_b32_e32 v12, s16
	v_mov_b32_e32 v13, s17
	s_waitcnt vmcnt(0)
	v_readfirstlane_b32 s20, v0
	v_readfirstlane_b32 s21, v1
	s_and_b64 s[20:21], s[20:21], s[16:17]
	s_mul_i32 s15, s21, 24
	s_mul_hi_u32 s21, s20, 24
	s_mul_i32 s20, s20, 24
	s_add_i32 s15, s21, s15
	v_mov_b32_e32 v0, s15
	v_add_co_u32_e32 v4, vcc, s20, v6
	v_addc_co_u32_e32 v5, vcc, v7, v0, vcc
	global_store_dwordx2 v[4:5], v[14:15], off
	s_waitcnt vmcnt(0)
	global_atomic_cmpswap_x2 v[2:3], v8, v[12:15], s[6:7] offset:32 glc
	s_waitcnt vmcnt(0)
	v_cmp_ne_u64_e32 vcc, v[2:3], v[14:15]
	s_and_saveexec_b64 s[20:21], vcc
	s_cbranch_execz .LBB4_1310
; %bb.1308:
	s_mov_b64 s[22:23], 0
.LBB4_1309:                             ; =>This Inner Loop Header: Depth=1
	s_sleep 1
	global_store_dwordx2 v[4:5], v[2:3], off
	v_mov_b32_e32 v0, s16
	v_mov_b32_e32 v1, s17
	s_waitcnt vmcnt(0)
	global_atomic_cmpswap_x2 v[0:1], v8, v[0:3], s[6:7] offset:32 glc
	s_waitcnt vmcnt(0)
	v_cmp_eq_u64_e32 vcc, v[0:1], v[2:3]
	v_mov_b32_e32 v3, v1
	s_or_b64 s[22:23], vcc, s[22:23]
	v_mov_b32_e32 v2, v0
	s_andn2_b64 exec, exec, s[22:23]
	s_cbranch_execnz .LBB4_1309
.LBB4_1310:
	s_or_b64 exec, exec, s[20:21]
	v_mov_b32_e32 v3, 0
	global_load_dwordx2 v[0:1], v3, s[6:7] offset:16
	s_mov_b64 s[20:21], exec
	v_mbcnt_lo_u32_b32 v2, s20, 0
	v_mbcnt_hi_u32_b32 v2, s21, v2
	v_cmp_eq_u32_e32 vcc, 0, v2
	s_and_saveexec_b64 s[22:23], vcc
	s_cbranch_execz .LBB4_1312
; %bb.1311:
	s_bcnt1_i32_b64 s15, s[20:21]
	v_mov_b32_e32 v2, s15
	s_waitcnt vmcnt(0)
	global_atomic_add_x2 v[0:1], v[2:3], off offset:8
.LBB4_1312:
	s_or_b64 exec, exec, s[22:23]
	s_waitcnt vmcnt(0)
	global_load_dwordx2 v[2:3], v[0:1], off offset:16
	s_waitcnt vmcnt(0)
	v_cmp_eq_u64_e32 vcc, 0, v[2:3]
	s_cbranch_vccnz .LBB4_1314
; %bb.1313:
	global_load_dword v0, v[0:1], off offset:24
	v_mov_b32_e32 v1, 0
	s_waitcnt vmcnt(0)
	global_store_dwordx2 v[2:3], v[0:1], off
	v_and_b32_e32 v0, 0xffffff, v0
	v_readfirstlane_b32 m0, v0
	s_sendmsg sendmsg(MSG_INTERRUPT)
.LBB4_1314:
	s_or_b64 exec, exec, s[18:19]
	s_branch .LBB4_1318
.LBB4_1315:                             ;   in Loop: Header=BB4_1318 Depth=1
	s_or_b64 exec, exec, s[18:19]
	v_readfirstlane_b32 s15, v0
	s_cmp_eq_u32 s15, 0
	s_cbranch_scc1 .LBB4_1317
; %bb.1316:                             ;   in Loop: Header=BB4_1318 Depth=1
	s_sleep 1
	s_cbranch_execnz .LBB4_1318
	s_branch .LBB4_1320
.LBB4_1317:
	s_branch .LBB4_1320
.LBB4_1318:                             ; =>This Inner Loop Header: Depth=1
	v_mov_b32_e32 v0, 1
	s_and_saveexec_b64 s[18:19], s[4:5]
	s_cbranch_execz .LBB4_1315
; %bb.1319:                             ;   in Loop: Header=BB4_1318 Depth=1
	global_load_dword v0, v[10:11], off offset:20 glc
	s_waitcnt vmcnt(0)
	buffer_wbinvl1_vol
	v_and_b32_e32 v0, 1, v0
	s_branch .LBB4_1315
.LBB4_1320:
	s_and_saveexec_b64 s[18:19], s[4:5]
	s_cbranch_execz .LBB4_1323
; %bb.1321:
	v_mov_b32_e32 v6, 0
	global_load_dwordx2 v[2:3], v6, s[6:7] offset:40
	global_load_dwordx2 v[7:8], v6, s[6:7] offset:24 glc
	global_load_dwordx2 v[4:5], v6, s[6:7]
	v_mov_b32_e32 v1, s17
	s_mov_b64 s[4:5], 0
	s_waitcnt vmcnt(2)
	v_add_co_u32_e32 v9, vcc, 1, v2
	v_addc_co_u32_e32 v10, vcc, 0, v3, vcc
	v_add_co_u32_e32 v0, vcc, s16, v9
	v_addc_co_u32_e32 v1, vcc, v10, v1, vcc
	v_cmp_eq_u64_e32 vcc, 0, v[0:1]
	v_cndmask_b32_e32 v1, v1, v10, vcc
	v_cndmask_b32_e32 v0, v0, v9, vcc
	v_and_b32_e32 v3, v1, v3
	v_and_b32_e32 v2, v0, v2
	v_mul_lo_u32 v3, v3, 24
	v_mul_hi_u32 v9, v2, 24
	v_mul_lo_u32 v10, v2, 24
	s_waitcnt vmcnt(1)
	v_mov_b32_e32 v2, v7
	v_add_u32_e32 v3, v9, v3
	s_waitcnt vmcnt(0)
	v_add_co_u32_e32 v4, vcc, v4, v10
	v_addc_co_u32_e32 v5, vcc, v5, v3, vcc
	global_store_dwordx2 v[4:5], v[7:8], off
	v_mov_b32_e32 v3, v8
	s_waitcnt vmcnt(0)
	global_atomic_cmpswap_x2 v[2:3], v6, v[0:3], s[6:7] offset:24 glc
	s_waitcnt vmcnt(0)
	v_cmp_ne_u64_e32 vcc, v[2:3], v[7:8]
	s_and_b64 exec, exec, vcc
	s_cbranch_execz .LBB4_1323
.LBB4_1322:                             ; =>This Inner Loop Header: Depth=1
	s_sleep 1
	global_store_dwordx2 v[4:5], v[2:3], off
	s_waitcnt vmcnt(0)
	global_atomic_cmpswap_x2 v[7:8], v6, v[0:3], s[6:7] offset:24 glc
	s_waitcnt vmcnt(0)
	v_cmp_eq_u64_e32 vcc, v[7:8], v[2:3]
	v_mov_b32_e32 v2, v7
	s_or_b64 s[4:5], vcc, s[4:5]
	v_mov_b32_e32 v3, v8
	s_andn2_b64 exec, exec, s[4:5]
	s_cbranch_execnz .LBB4_1322
.LBB4_1323:
	s_or_b64 exec, exec, s[18:19]
	v_readfirstlane_b32 s4, v32
	v_mov_b32_e32 v5, 0
	v_mov_b32_e32 v6, 0
	v_cmp_eq_u32_e64 s[4:5], s4, v32
	s_and_saveexec_b64 s[16:17], s[4:5]
	s_cbranch_execz .LBB4_1329
; %bb.1324:
	v_mov_b32_e32 v0, 0
	global_load_dwordx2 v[3:4], v0, s[6:7] offset:24 glc
	s_waitcnt vmcnt(0)
	buffer_wbinvl1_vol
	global_load_dwordx2 v[1:2], v0, s[6:7] offset:40
	global_load_dwordx2 v[5:6], v0, s[6:7]
	s_waitcnt vmcnt(1)
	v_and_b32_e32 v1, v1, v3
	v_and_b32_e32 v2, v2, v4
	v_mul_lo_u32 v2, v2, 24
	v_mul_hi_u32 v7, v1, 24
	v_mul_lo_u32 v1, v1, 24
	v_add_u32_e32 v2, v7, v2
	s_waitcnt vmcnt(0)
	v_add_co_u32_e32 v1, vcc, v5, v1
	v_addc_co_u32_e32 v2, vcc, v6, v2, vcc
	global_load_dwordx2 v[1:2], v[1:2], off glc
	s_waitcnt vmcnt(0)
	global_atomic_cmpswap_x2 v[5:6], v0, v[1:4], s[6:7] offset:24 glc
	s_waitcnt vmcnt(0)
	buffer_wbinvl1_vol
	v_cmp_ne_u64_e32 vcc, v[5:6], v[3:4]
	s_and_saveexec_b64 s[18:19], vcc
	s_cbranch_execz .LBB4_1328
; %bb.1325:
	s_mov_b64 s[20:21], 0
.LBB4_1326:                             ; =>This Inner Loop Header: Depth=1
	s_sleep 1
	global_load_dwordx2 v[1:2], v0, s[6:7] offset:40
	global_load_dwordx2 v[7:8], v0, s[6:7]
	v_mov_b32_e32 v3, v5
	v_mov_b32_e32 v4, v6
	s_waitcnt vmcnt(1)
	v_and_b32_e32 v1, v1, v3
	s_waitcnt vmcnt(0)
	v_mad_u64_u32 v[5:6], s[22:23], v1, 24, v[7:8]
	v_and_b32_e32 v2, v2, v4
	v_mov_b32_e32 v1, v6
	v_mad_u64_u32 v[1:2], s[22:23], v2, 24, v[1:2]
	v_mov_b32_e32 v6, v1
	global_load_dwordx2 v[1:2], v[5:6], off glc
	s_waitcnt vmcnt(0)
	global_atomic_cmpswap_x2 v[5:6], v0, v[1:4], s[6:7] offset:24 glc
	s_waitcnt vmcnt(0)
	buffer_wbinvl1_vol
	v_cmp_eq_u64_e32 vcc, v[5:6], v[3:4]
	s_or_b64 s[20:21], vcc, s[20:21]
	s_andn2_b64 exec, exec, s[20:21]
	s_cbranch_execnz .LBB4_1326
; %bb.1327:
	s_or_b64 exec, exec, s[20:21]
.LBB4_1328:
	s_or_b64 exec, exec, s[18:19]
.LBB4_1329:
	s_or_b64 exec, exec, s[16:17]
	v_mov_b32_e32 v4, 0
	global_load_dwordx2 v[7:8], v4, s[6:7] offset:40
	global_load_dwordx4 v[0:3], v4, s[6:7]
	v_readfirstlane_b32 s16, v5
	v_readfirstlane_b32 s17, v6
	s_mov_b64 s[18:19], exec
	s_waitcnt vmcnt(1)
	v_readfirstlane_b32 s20, v7
	v_readfirstlane_b32 s21, v8
	s_and_b64 s[20:21], s[16:17], s[20:21]
	s_mul_i32 s15, s21, 24
	s_mul_hi_u32 s22, s20, 24
	s_mul_i32 s23, s20, 24
	s_add_i32 s15, s22, s15
	v_mov_b32_e32 v5, s15
	s_waitcnt vmcnt(0)
	v_add_co_u32_e32 v7, vcc, s23, v0
	v_addc_co_u32_e32 v8, vcc, v1, v5, vcc
	s_and_saveexec_b64 s[22:23], s[4:5]
	s_cbranch_execz .LBB4_1331
; %bb.1330:
	v_mov_b32_e32 v9, s18
	v_mov_b32_e32 v10, s19
	;; [unrolled: 1-line block ×4, first 2 shown]
	global_store_dwordx4 v[7:8], v[9:12], off offset:8
.LBB4_1331:
	s_or_b64 exec, exec, s[22:23]
	s_lshl_b64 s[18:19], s[20:21], 12
	v_mov_b32_e32 v5, s19
	v_add_co_u32_e32 v2, vcc, s18, v2
	v_addc_co_u32_e32 v11, vcc, v3, v5, vcc
	s_mov_b32 s20, 0
	v_mov_b32_e32 v3, 33
	v_mov_b32_e32 v5, v4
	;; [unrolled: 1-line block ×3, first 2 shown]
	v_readfirstlane_b32 s18, v2
	v_readfirstlane_b32 s19, v11
	v_add_co_u32_e32 v9, vcc, v2, v31
	s_mov_b32 s21, s20
	s_mov_b32 s22, s20
	;; [unrolled: 1-line block ×3, first 2 shown]
	s_nop 0
	global_store_dwordx4 v31, v[3:6], s[18:19]
	v_mov_b32_e32 v2, s20
	v_addc_co_u32_e32 v10, vcc, 0, v11, vcc
	v_mov_b32_e32 v3, s21
	v_mov_b32_e32 v4, s22
	;; [unrolled: 1-line block ×3, first 2 shown]
	global_store_dwordx4 v31, v[2:5], s[18:19] offset:16
	global_store_dwordx4 v31, v[2:5], s[18:19] offset:32
	;; [unrolled: 1-line block ×3, first 2 shown]
	s_and_saveexec_b64 s[18:19], s[4:5]
	s_cbranch_execz .LBB4_1339
; %bb.1332:
	v_mov_b32_e32 v6, 0
	global_load_dwordx2 v[13:14], v6, s[6:7] offset:32 glc
	global_load_dwordx2 v[2:3], v6, s[6:7] offset:40
	v_mov_b32_e32 v11, s16
	v_mov_b32_e32 v12, s17
	s_waitcnt vmcnt(0)
	v_readfirstlane_b32 s20, v2
	v_readfirstlane_b32 s21, v3
	s_and_b64 s[20:21], s[20:21], s[16:17]
	s_mul_i32 s15, s21, 24
	s_mul_hi_u32 s21, s20, 24
	s_mul_i32 s20, s20, 24
	s_add_i32 s15, s21, s15
	v_mov_b32_e32 v2, s15
	v_add_co_u32_e32 v4, vcc, s20, v0
	v_addc_co_u32_e32 v5, vcc, v1, v2, vcc
	global_store_dwordx2 v[4:5], v[13:14], off
	s_waitcnt vmcnt(0)
	global_atomic_cmpswap_x2 v[2:3], v6, v[11:14], s[6:7] offset:32 glc
	s_waitcnt vmcnt(0)
	v_cmp_ne_u64_e32 vcc, v[2:3], v[13:14]
	s_and_saveexec_b64 s[20:21], vcc
	s_cbranch_execz .LBB4_1335
; %bb.1333:
	s_mov_b64 s[22:23], 0
.LBB4_1334:                             ; =>This Inner Loop Header: Depth=1
	s_sleep 1
	global_store_dwordx2 v[4:5], v[2:3], off
	v_mov_b32_e32 v0, s16
	v_mov_b32_e32 v1, s17
	s_waitcnt vmcnt(0)
	global_atomic_cmpswap_x2 v[0:1], v6, v[0:3], s[6:7] offset:32 glc
	s_waitcnt vmcnt(0)
	v_cmp_eq_u64_e32 vcc, v[0:1], v[2:3]
	v_mov_b32_e32 v3, v1
	s_or_b64 s[22:23], vcc, s[22:23]
	v_mov_b32_e32 v2, v0
	s_andn2_b64 exec, exec, s[22:23]
	s_cbranch_execnz .LBB4_1334
.LBB4_1335:
	s_or_b64 exec, exec, s[20:21]
	v_mov_b32_e32 v3, 0
	global_load_dwordx2 v[0:1], v3, s[6:7] offset:16
	s_mov_b64 s[20:21], exec
	v_mbcnt_lo_u32_b32 v2, s20, 0
	v_mbcnt_hi_u32_b32 v2, s21, v2
	v_cmp_eq_u32_e32 vcc, 0, v2
	s_and_saveexec_b64 s[22:23], vcc
	s_cbranch_execz .LBB4_1337
; %bb.1336:
	s_bcnt1_i32_b64 s15, s[20:21]
	v_mov_b32_e32 v2, s15
	s_waitcnt vmcnt(0)
	global_atomic_add_x2 v[0:1], v[2:3], off offset:8
.LBB4_1337:
	s_or_b64 exec, exec, s[22:23]
	s_waitcnt vmcnt(0)
	global_load_dwordx2 v[2:3], v[0:1], off offset:16
	s_waitcnt vmcnt(0)
	v_cmp_eq_u64_e32 vcc, 0, v[2:3]
	s_cbranch_vccnz .LBB4_1339
; %bb.1338:
	global_load_dword v0, v[0:1], off offset:24
	v_mov_b32_e32 v1, 0
	s_waitcnt vmcnt(0)
	global_store_dwordx2 v[2:3], v[0:1], off
	v_and_b32_e32 v0, 0xffffff, v0
	v_readfirstlane_b32 m0, v0
	s_sendmsg sendmsg(MSG_INTERRUPT)
.LBB4_1339:
	s_or_b64 exec, exec, s[18:19]
	s_branch .LBB4_1343
.LBB4_1340:                             ;   in Loop: Header=BB4_1343 Depth=1
	s_or_b64 exec, exec, s[18:19]
	v_readfirstlane_b32 s15, v0
	s_cmp_eq_u32 s15, 0
	s_cbranch_scc1 .LBB4_1342
; %bb.1341:                             ;   in Loop: Header=BB4_1343 Depth=1
	s_sleep 1
	s_cbranch_execnz .LBB4_1343
	s_branch .LBB4_1345
.LBB4_1342:
	s_branch .LBB4_1345
.LBB4_1343:                             ; =>This Inner Loop Header: Depth=1
	v_mov_b32_e32 v0, 1
	s_and_saveexec_b64 s[18:19], s[4:5]
	s_cbranch_execz .LBB4_1340
; %bb.1344:                             ;   in Loop: Header=BB4_1343 Depth=1
	global_load_dword v0, v[7:8], off offset:20 glc
	s_waitcnt vmcnt(0)
	buffer_wbinvl1_vol
	v_and_b32_e32 v0, 1, v0
	s_branch .LBB4_1340
.LBB4_1345:
	global_load_dwordx2 v[4:5], v[9:10], off
	s_and_saveexec_b64 s[18:19], s[4:5]
	s_cbranch_execz .LBB4_1348
; %bb.1346:
	v_mov_b32_e32 v8, 0
	global_load_dwordx2 v[2:3], v8, s[6:7] offset:40
	global_load_dwordx2 v[9:10], v8, s[6:7] offset:24 glc
	global_load_dwordx2 v[6:7], v8, s[6:7]
	v_mov_b32_e32 v1, s17
	s_mov_b64 s[4:5], 0
	s_waitcnt vmcnt(2)
	v_add_co_u32_e32 v11, vcc, 1, v2
	v_addc_co_u32_e32 v12, vcc, 0, v3, vcc
	v_add_co_u32_e32 v0, vcc, s16, v11
	v_addc_co_u32_e32 v1, vcc, v12, v1, vcc
	v_cmp_eq_u64_e32 vcc, 0, v[0:1]
	v_cndmask_b32_e32 v1, v1, v12, vcc
	v_cndmask_b32_e32 v0, v0, v11, vcc
	v_and_b32_e32 v3, v1, v3
	v_and_b32_e32 v2, v0, v2
	v_mul_lo_u32 v3, v3, 24
	v_mul_hi_u32 v11, v2, 24
	v_mul_lo_u32 v12, v2, 24
	s_waitcnt vmcnt(1)
	v_mov_b32_e32 v2, v9
	v_add_u32_e32 v3, v11, v3
	s_waitcnt vmcnt(0)
	v_add_co_u32_e32 v6, vcc, v6, v12
	v_addc_co_u32_e32 v7, vcc, v7, v3, vcc
	global_store_dwordx2 v[6:7], v[9:10], off
	v_mov_b32_e32 v3, v10
	s_waitcnt vmcnt(0)
	global_atomic_cmpswap_x2 v[2:3], v8, v[0:3], s[6:7] offset:24 glc
	s_waitcnt vmcnt(0)
	v_cmp_ne_u64_e32 vcc, v[2:3], v[9:10]
	s_and_b64 exec, exec, vcc
	s_cbranch_execz .LBB4_1348
.LBB4_1347:                             ; =>This Inner Loop Header: Depth=1
	s_sleep 1
	global_store_dwordx2 v[6:7], v[2:3], off
	s_waitcnt vmcnt(0)
	global_atomic_cmpswap_x2 v[9:10], v8, v[0:3], s[6:7] offset:24 glc
	s_waitcnt vmcnt(0)
	v_cmp_eq_u64_e32 vcc, v[9:10], v[2:3]
	v_mov_b32_e32 v2, v9
	s_or_b64 s[4:5], vcc, s[4:5]
	v_mov_b32_e32 v3, v10
	s_andn2_b64 exec, exec, s[4:5]
	s_cbranch_execnz .LBB4_1347
.LBB4_1348:
	s_or_b64 exec, exec, s[18:19]
	s_and_b64 vcc, exec, s[10:11]
	s_cbranch_vccz .LBB4_1433
; %bb.1349:
	s_waitcnt vmcnt(0)
	v_and_b32_e32 v29, 2, v4
	v_mov_b32_e32 v26, 0
	v_and_b32_e32 v0, -3, v4
	v_mov_b32_e32 v1, v5
	s_mov_b64 s[16:17], 3
	v_mov_b32_e32 v8, 2
	v_mov_b32_e32 v9, 1
	s_getpc_b64 s[10:11]
	s_add_u32 s10, s10, .str.5@rel32@lo+4
	s_addc_u32 s11, s11, .str.5@rel32@hi+12
	s_branch .LBB4_1351
.LBB4_1350:                             ;   in Loop: Header=BB4_1351 Depth=1
	s_or_b64 exec, exec, s[22:23]
	s_sub_u32 s16, s16, s18
	s_subb_u32 s17, s17, s19
	s_add_u32 s10, s10, s18
	s_addc_u32 s11, s11, s19
	s_cmp_lg_u64 s[16:17], 0
	s_cbranch_scc0 .LBB4_1432
.LBB4_1351:                             ; =>This Loop Header: Depth=1
                                        ;     Child Loop BB4_1354 Depth 2
                                        ;     Child Loop BB4_1361 Depth 2
	;; [unrolled: 1-line block ×11, first 2 shown]
	v_cmp_lt_u64_e64 s[4:5], s[16:17], 56
	v_cmp_gt_u64_e64 s[20:21], s[16:17], 7
	s_and_b64 s[4:5], s[4:5], exec
	s_cselect_b32 s19, s17, 0
	s_cselect_b32 s18, s16, 56
	s_and_b64 vcc, exec, s[20:21]
	s_cbranch_vccnz .LBB4_1356
; %bb.1352:                             ;   in Loop: Header=BB4_1351 Depth=1
	s_waitcnt vmcnt(0)
	v_mov_b32_e32 v2, 0
	s_cmp_eq_u64 s[16:17], 0
	v_mov_b32_e32 v3, 0
	s_mov_b64 s[4:5], 0
	s_cbranch_scc1 .LBB4_1355
; %bb.1353:                             ;   in Loop: Header=BB4_1351 Depth=1
	v_mov_b32_e32 v2, 0
	s_lshl_b64 s[20:21], s[18:19], 3
	s_mov_b64 s[22:23], 0
	v_mov_b32_e32 v3, 0
	s_mov_b64 s[24:25], s[10:11]
.LBB4_1354:                             ;   Parent Loop BB4_1351 Depth=1
                                        ; =>  This Inner Loop Header: Depth=2
	global_load_ubyte v6, v26, s[24:25]
	s_waitcnt vmcnt(0)
	v_and_b32_e32 v25, 0xffff, v6
	v_lshlrev_b64 v[6:7], s22, v[25:26]
	s_add_u32 s22, s22, 8
	s_addc_u32 s23, s23, 0
	s_add_u32 s24, s24, 1
	s_addc_u32 s25, s25, 0
	v_or_b32_e32 v2, v6, v2
	s_cmp_lg_u32 s20, s22
	v_or_b32_e32 v3, v7, v3
	s_cbranch_scc1 .LBB4_1354
.LBB4_1355:                             ;   in Loop: Header=BB4_1351 Depth=1
	s_mov_b32 s15, 0
	s_andn2_b64 vcc, exec, s[4:5]
	s_mov_b64 s[4:5], s[10:11]
	s_cbranch_vccz .LBB4_1357
	s_branch .LBB4_1358
.LBB4_1356:                             ;   in Loop: Header=BB4_1351 Depth=1
                                        ; implicit-def: $vgpr2_vgpr3
                                        ; implicit-def: $sgpr15
	s_mov_b64 s[4:5], s[10:11]
.LBB4_1357:                             ;   in Loop: Header=BB4_1351 Depth=1
	global_load_dwordx2 v[2:3], v26, s[10:11]
	s_add_i32 s15, s18, -8
	s_add_u32 s4, s10, 8
	s_addc_u32 s5, s11, 0
.LBB4_1358:                             ;   in Loop: Header=BB4_1351 Depth=1
	s_cmp_gt_u32 s15, 7
	s_cbranch_scc1 .LBB4_1362
; %bb.1359:                             ;   in Loop: Header=BB4_1351 Depth=1
	s_cmp_eq_u32 s15, 0
	s_cbranch_scc1 .LBB4_1363
; %bb.1360:                             ;   in Loop: Header=BB4_1351 Depth=1
	v_mov_b32_e32 v10, 0
	s_mov_b64 s[20:21], 0
	v_mov_b32_e32 v11, 0
	s_mov_b64 s[22:23], 0
.LBB4_1361:                             ;   Parent Loop BB4_1351 Depth=1
                                        ; =>  This Inner Loop Header: Depth=2
	s_add_u32 s24, s4, s22
	s_addc_u32 s25, s5, s23
	global_load_ubyte v6, v26, s[24:25]
	s_add_u32 s22, s22, 1
	s_addc_u32 s23, s23, 0
	s_waitcnt vmcnt(0)
	v_and_b32_e32 v25, 0xffff, v6
	v_lshlrev_b64 v[6:7], s20, v[25:26]
	s_add_u32 s20, s20, 8
	s_addc_u32 s21, s21, 0
	v_or_b32_e32 v10, v6, v10
	s_cmp_lg_u32 s15, s22
	v_or_b32_e32 v11, v7, v11
	s_cbranch_scc1 .LBB4_1361
	s_branch .LBB4_1364
.LBB4_1362:                             ;   in Loop: Header=BB4_1351 Depth=1
                                        ; implicit-def: $vgpr10_vgpr11
                                        ; implicit-def: $sgpr24
	s_branch .LBB4_1365
.LBB4_1363:                             ;   in Loop: Header=BB4_1351 Depth=1
	v_mov_b32_e32 v10, 0
	v_mov_b32_e32 v11, 0
.LBB4_1364:                             ;   in Loop: Header=BB4_1351 Depth=1
	s_mov_b32 s24, 0
	s_cbranch_execnz .LBB4_1366
.LBB4_1365:                             ;   in Loop: Header=BB4_1351 Depth=1
	global_load_dwordx2 v[10:11], v26, s[4:5]
	s_add_i32 s24, s15, -8
	s_add_u32 s4, s4, 8
	s_addc_u32 s5, s5, 0
.LBB4_1366:                             ;   in Loop: Header=BB4_1351 Depth=1
	s_cmp_gt_u32 s24, 7
	s_cbranch_scc1 .LBB4_1370
; %bb.1367:                             ;   in Loop: Header=BB4_1351 Depth=1
	s_cmp_eq_u32 s24, 0
	s_cbranch_scc1 .LBB4_1371
; %bb.1368:                             ;   in Loop: Header=BB4_1351 Depth=1
	v_mov_b32_e32 v12, 0
	s_mov_b64 s[20:21], 0
	v_mov_b32_e32 v13, 0
	s_mov_b64 s[22:23], 0
.LBB4_1369:                             ;   Parent Loop BB4_1351 Depth=1
                                        ; =>  This Inner Loop Header: Depth=2
	s_add_u32 s26, s4, s22
	s_addc_u32 s27, s5, s23
	global_load_ubyte v6, v26, s[26:27]
	s_add_u32 s22, s22, 1
	s_addc_u32 s23, s23, 0
	s_waitcnt vmcnt(0)
	v_and_b32_e32 v25, 0xffff, v6
	v_lshlrev_b64 v[6:7], s20, v[25:26]
	s_add_u32 s20, s20, 8
	s_addc_u32 s21, s21, 0
	v_or_b32_e32 v12, v6, v12
	s_cmp_lg_u32 s24, s22
	v_or_b32_e32 v13, v7, v13
	s_cbranch_scc1 .LBB4_1369
	s_branch .LBB4_1372
.LBB4_1370:                             ;   in Loop: Header=BB4_1351 Depth=1
                                        ; implicit-def: $sgpr15
	s_branch .LBB4_1373
.LBB4_1371:                             ;   in Loop: Header=BB4_1351 Depth=1
	v_mov_b32_e32 v12, 0
	v_mov_b32_e32 v13, 0
.LBB4_1372:                             ;   in Loop: Header=BB4_1351 Depth=1
	s_mov_b32 s15, 0
	s_cbranch_execnz .LBB4_1374
.LBB4_1373:                             ;   in Loop: Header=BB4_1351 Depth=1
	global_load_dwordx2 v[12:13], v26, s[4:5]
	s_add_i32 s15, s24, -8
	s_add_u32 s4, s4, 8
	s_addc_u32 s5, s5, 0
.LBB4_1374:                             ;   in Loop: Header=BB4_1351 Depth=1
	s_cmp_gt_u32 s15, 7
	s_cbranch_scc1 .LBB4_1378
; %bb.1375:                             ;   in Loop: Header=BB4_1351 Depth=1
	s_cmp_eq_u32 s15, 0
	s_cbranch_scc1 .LBB4_1379
; %bb.1376:                             ;   in Loop: Header=BB4_1351 Depth=1
	v_mov_b32_e32 v14, 0
	s_mov_b64 s[20:21], 0
	v_mov_b32_e32 v15, 0
	s_mov_b64 s[22:23], 0
.LBB4_1377:                             ;   Parent Loop BB4_1351 Depth=1
                                        ; =>  This Inner Loop Header: Depth=2
	s_add_u32 s24, s4, s22
	s_addc_u32 s25, s5, s23
	global_load_ubyte v6, v26, s[24:25]
	s_add_u32 s22, s22, 1
	s_addc_u32 s23, s23, 0
	s_waitcnt vmcnt(0)
	v_and_b32_e32 v25, 0xffff, v6
	v_lshlrev_b64 v[6:7], s20, v[25:26]
	s_add_u32 s20, s20, 8
	s_addc_u32 s21, s21, 0
	v_or_b32_e32 v14, v6, v14
	s_cmp_lg_u32 s15, s22
	v_or_b32_e32 v15, v7, v15
	s_cbranch_scc1 .LBB4_1377
	s_branch .LBB4_1380
.LBB4_1378:                             ;   in Loop: Header=BB4_1351 Depth=1
                                        ; implicit-def: $vgpr14_vgpr15
                                        ; implicit-def: $sgpr24
	s_branch .LBB4_1381
.LBB4_1379:                             ;   in Loop: Header=BB4_1351 Depth=1
	v_mov_b32_e32 v14, 0
	v_mov_b32_e32 v15, 0
.LBB4_1380:                             ;   in Loop: Header=BB4_1351 Depth=1
	s_mov_b32 s24, 0
	s_cbranch_execnz .LBB4_1382
.LBB4_1381:                             ;   in Loop: Header=BB4_1351 Depth=1
	global_load_dwordx2 v[14:15], v26, s[4:5]
	s_add_i32 s24, s15, -8
	s_add_u32 s4, s4, 8
	s_addc_u32 s5, s5, 0
.LBB4_1382:                             ;   in Loop: Header=BB4_1351 Depth=1
	s_cmp_gt_u32 s24, 7
	s_cbranch_scc1 .LBB4_1386
; %bb.1383:                             ;   in Loop: Header=BB4_1351 Depth=1
	s_cmp_eq_u32 s24, 0
	s_cbranch_scc1 .LBB4_1387
; %bb.1384:                             ;   in Loop: Header=BB4_1351 Depth=1
	v_mov_b32_e32 v16, 0
	s_mov_b64 s[20:21], 0
	v_mov_b32_e32 v17, 0
	s_mov_b64 s[22:23], 0
.LBB4_1385:                             ;   Parent Loop BB4_1351 Depth=1
                                        ; =>  This Inner Loop Header: Depth=2
	s_add_u32 s26, s4, s22
	s_addc_u32 s27, s5, s23
	global_load_ubyte v6, v26, s[26:27]
	s_add_u32 s22, s22, 1
	s_addc_u32 s23, s23, 0
	s_waitcnt vmcnt(0)
	v_and_b32_e32 v25, 0xffff, v6
	v_lshlrev_b64 v[6:7], s20, v[25:26]
	s_add_u32 s20, s20, 8
	s_addc_u32 s21, s21, 0
	v_or_b32_e32 v16, v6, v16
	s_cmp_lg_u32 s24, s22
	v_or_b32_e32 v17, v7, v17
	s_cbranch_scc1 .LBB4_1385
	s_branch .LBB4_1388
.LBB4_1386:                             ;   in Loop: Header=BB4_1351 Depth=1
                                        ; implicit-def: $sgpr15
	s_branch .LBB4_1389
.LBB4_1387:                             ;   in Loop: Header=BB4_1351 Depth=1
	v_mov_b32_e32 v16, 0
	v_mov_b32_e32 v17, 0
.LBB4_1388:                             ;   in Loop: Header=BB4_1351 Depth=1
	s_mov_b32 s15, 0
	s_cbranch_execnz .LBB4_1390
.LBB4_1389:                             ;   in Loop: Header=BB4_1351 Depth=1
	global_load_dwordx2 v[16:17], v26, s[4:5]
	s_add_i32 s15, s24, -8
	s_add_u32 s4, s4, 8
	s_addc_u32 s5, s5, 0
.LBB4_1390:                             ;   in Loop: Header=BB4_1351 Depth=1
	s_cmp_gt_u32 s15, 7
	s_cbranch_scc1 .LBB4_1394
; %bb.1391:                             ;   in Loop: Header=BB4_1351 Depth=1
	s_cmp_eq_u32 s15, 0
	s_cbranch_scc1 .LBB4_1395
; %bb.1392:                             ;   in Loop: Header=BB4_1351 Depth=1
	v_mov_b32_e32 v18, 0
	s_mov_b64 s[20:21], 0
	v_mov_b32_e32 v19, 0
	s_mov_b64 s[22:23], 0
.LBB4_1393:                             ;   Parent Loop BB4_1351 Depth=1
                                        ; =>  This Inner Loop Header: Depth=2
	s_add_u32 s24, s4, s22
	s_addc_u32 s25, s5, s23
	global_load_ubyte v6, v26, s[24:25]
	s_add_u32 s22, s22, 1
	s_addc_u32 s23, s23, 0
	s_waitcnt vmcnt(0)
	v_and_b32_e32 v25, 0xffff, v6
	v_lshlrev_b64 v[6:7], s20, v[25:26]
	s_add_u32 s20, s20, 8
	s_addc_u32 s21, s21, 0
	v_or_b32_e32 v18, v6, v18
	s_cmp_lg_u32 s15, s22
	v_or_b32_e32 v19, v7, v19
	s_cbranch_scc1 .LBB4_1393
	s_branch .LBB4_1396
.LBB4_1394:                             ;   in Loop: Header=BB4_1351 Depth=1
                                        ; implicit-def: $vgpr18_vgpr19
                                        ; implicit-def: $sgpr24
	s_branch .LBB4_1397
.LBB4_1395:                             ;   in Loop: Header=BB4_1351 Depth=1
	v_mov_b32_e32 v18, 0
	v_mov_b32_e32 v19, 0
.LBB4_1396:                             ;   in Loop: Header=BB4_1351 Depth=1
	s_mov_b32 s24, 0
	s_cbranch_execnz .LBB4_1398
.LBB4_1397:                             ;   in Loop: Header=BB4_1351 Depth=1
	global_load_dwordx2 v[18:19], v26, s[4:5]
	s_add_i32 s24, s15, -8
	s_add_u32 s4, s4, 8
	s_addc_u32 s5, s5, 0
.LBB4_1398:                             ;   in Loop: Header=BB4_1351 Depth=1
	s_cmp_gt_u32 s24, 7
	s_cbranch_scc1 .LBB4_1402
; %bb.1399:                             ;   in Loop: Header=BB4_1351 Depth=1
	s_cmp_eq_u32 s24, 0
	s_cbranch_scc1 .LBB4_1403
; %bb.1400:                             ;   in Loop: Header=BB4_1351 Depth=1
	v_mov_b32_e32 v20, 0
	s_mov_b64 s[20:21], 0
	v_mov_b32_e32 v21, 0
	s_mov_b64 s[22:23], s[4:5]
.LBB4_1401:                             ;   Parent Loop BB4_1351 Depth=1
                                        ; =>  This Inner Loop Header: Depth=2
	global_load_ubyte v6, v26, s[22:23]
	s_add_i32 s24, s24, -1
	s_waitcnt vmcnt(0)
	v_and_b32_e32 v25, 0xffff, v6
	v_lshlrev_b64 v[6:7], s20, v[25:26]
	s_add_u32 s20, s20, 8
	s_addc_u32 s21, s21, 0
	s_add_u32 s22, s22, 1
	s_addc_u32 s23, s23, 0
	v_or_b32_e32 v20, v6, v20
	s_cmp_lg_u32 s24, 0
	v_or_b32_e32 v21, v7, v21
	s_cbranch_scc1 .LBB4_1401
	s_branch .LBB4_1404
.LBB4_1402:                             ;   in Loop: Header=BB4_1351 Depth=1
	s_branch .LBB4_1405
.LBB4_1403:                             ;   in Loop: Header=BB4_1351 Depth=1
	v_mov_b32_e32 v20, 0
	v_mov_b32_e32 v21, 0
.LBB4_1404:                             ;   in Loop: Header=BB4_1351 Depth=1
	s_cbranch_execnz .LBB4_1406
.LBB4_1405:                             ;   in Loop: Header=BB4_1351 Depth=1
	global_load_dwordx2 v[20:21], v26, s[4:5]
.LBB4_1406:                             ;   in Loop: Header=BB4_1351 Depth=1
	v_readfirstlane_b32 s4, v32
	v_mov_b32_e32 v6, 0
	v_mov_b32_e32 v7, 0
	v_cmp_eq_u32_e64 s[4:5], s4, v32
	s_and_saveexec_b64 s[20:21], s[4:5]
	s_cbranch_execz .LBB4_1412
; %bb.1407:                             ;   in Loop: Header=BB4_1351 Depth=1
	global_load_dwordx2 v[24:25], v26, s[6:7] offset:24 glc
	s_waitcnt vmcnt(0)
	buffer_wbinvl1_vol
	global_load_dwordx2 v[6:7], v26, s[6:7] offset:40
	global_load_dwordx2 v[22:23], v26, s[6:7]
	s_waitcnt vmcnt(1)
	v_and_b32_e32 v6, v6, v24
	v_and_b32_e32 v7, v7, v25
	v_mul_lo_u32 v7, v7, 24
	v_mul_hi_u32 v27, v6, 24
	v_mul_lo_u32 v6, v6, 24
	v_add_u32_e32 v7, v27, v7
	s_waitcnt vmcnt(0)
	v_add_co_u32_e32 v6, vcc, v22, v6
	v_addc_co_u32_e32 v7, vcc, v23, v7, vcc
	global_load_dwordx2 v[22:23], v[6:7], off glc
	s_waitcnt vmcnt(0)
	global_atomic_cmpswap_x2 v[6:7], v26, v[22:25], s[6:7] offset:24 glc
	s_waitcnt vmcnt(0)
	buffer_wbinvl1_vol
	v_cmp_ne_u64_e32 vcc, v[6:7], v[24:25]
	s_and_saveexec_b64 s[22:23], vcc
	s_cbranch_execz .LBB4_1411
; %bb.1408:                             ;   in Loop: Header=BB4_1351 Depth=1
	s_mov_b64 s[24:25], 0
.LBB4_1409:                             ;   Parent Loop BB4_1351 Depth=1
                                        ; =>  This Inner Loop Header: Depth=2
	s_sleep 1
	global_load_dwordx2 v[22:23], v26, s[6:7] offset:40
	global_load_dwordx2 v[27:28], v26, s[6:7]
	v_mov_b32_e32 v25, v7
	v_mov_b32_e32 v24, v6
	s_waitcnt vmcnt(1)
	v_and_b32_e32 v6, v22, v24
	s_waitcnt vmcnt(0)
	v_mad_u64_u32 v[6:7], s[26:27], v6, 24, v[27:28]
	v_and_b32_e32 v22, v23, v25
	v_mad_u64_u32 v[22:23], s[26:27], v22, 24, v[7:8]
	v_mov_b32_e32 v7, v22
	global_load_dwordx2 v[22:23], v[6:7], off glc
	s_waitcnt vmcnt(0)
	global_atomic_cmpswap_x2 v[6:7], v26, v[22:25], s[6:7] offset:24 glc
	s_waitcnt vmcnt(0)
	buffer_wbinvl1_vol
	v_cmp_eq_u64_e32 vcc, v[6:7], v[24:25]
	s_or_b64 s[24:25], vcc, s[24:25]
	s_andn2_b64 exec, exec, s[24:25]
	s_cbranch_execnz .LBB4_1409
; %bb.1410:                             ;   in Loop: Header=BB4_1351 Depth=1
	s_or_b64 exec, exec, s[24:25]
.LBB4_1411:                             ;   in Loop: Header=BB4_1351 Depth=1
	s_or_b64 exec, exec, s[22:23]
.LBB4_1412:                             ;   in Loop: Header=BB4_1351 Depth=1
	s_or_b64 exec, exec, s[20:21]
	global_load_dwordx2 v[27:28], v26, s[6:7] offset:40
	global_load_dwordx4 v[22:25], v26, s[6:7]
	v_readfirstlane_b32 s20, v6
	v_readfirstlane_b32 s21, v7
	s_mov_b64 s[22:23], exec
	s_waitcnt vmcnt(1)
	v_readfirstlane_b32 s24, v27
	v_readfirstlane_b32 s25, v28
	s_and_b64 s[24:25], s[20:21], s[24:25]
	s_mul_i32 s15, s25, 24
	s_mul_hi_u32 s26, s24, 24
	s_mul_i32 s27, s24, 24
	s_add_i32 s15, s26, s15
	v_mov_b32_e32 v6, s15
	s_waitcnt vmcnt(0)
	v_add_co_u32_e32 v27, vcc, s27, v22
	v_addc_co_u32_e32 v28, vcc, v23, v6, vcc
	s_and_saveexec_b64 s[26:27], s[4:5]
	s_cbranch_execz .LBB4_1414
; %bb.1413:                             ;   in Loop: Header=BB4_1351 Depth=1
	v_mov_b32_e32 v6, s22
	v_mov_b32_e32 v7, s23
	global_store_dwordx4 v[27:28], v[6:9], off offset:8
.LBB4_1414:                             ;   in Loop: Header=BB4_1351 Depth=1
	s_or_b64 exec, exec, s[26:27]
	s_lshl_b64 s[22:23], s[24:25], 12
	v_mov_b32_e32 v6, s23
	v_add_co_u32_e32 v24, vcc, s22, v24
	v_addc_co_u32_e32 v30, vcc, v25, v6, vcc
	v_cmp_gt_u64_e64 vcc, s[16:17], 56
	v_or_b32_e32 v7, v0, v29
	s_lshl_b32 s15, s18, 2
	v_cndmask_b32_e32 v0, v7, v0, vcc
	s_add_i32 s15, s15, 28
	v_or_b32_e32 v6, 0, v1
	s_and_b32 s15, s15, 0x1e0
	v_and_b32_e32 v0, 0xffffff1f, v0
	v_cndmask_b32_e32 v1, v6, v1, vcc
	v_or_b32_e32 v0, s15, v0
	v_readfirstlane_b32 s22, v24
	v_readfirstlane_b32 s23, v30
	s_nop 4
	global_store_dwordx4 v31, v[0:3], s[22:23]
	global_store_dwordx4 v31, v[10:13], s[22:23] offset:16
	global_store_dwordx4 v31, v[14:17], s[22:23] offset:32
	;; [unrolled: 1-line block ×3, first 2 shown]
	s_and_saveexec_b64 s[22:23], s[4:5]
	s_cbranch_execz .LBB4_1422
; %bb.1415:                             ;   in Loop: Header=BB4_1351 Depth=1
	global_load_dwordx2 v[12:13], v26, s[6:7] offset:32 glc
	global_load_dwordx2 v[0:1], v26, s[6:7] offset:40
	v_mov_b32_e32 v10, s20
	v_mov_b32_e32 v11, s21
	s_waitcnt vmcnt(0)
	v_readfirstlane_b32 s24, v0
	v_readfirstlane_b32 s25, v1
	s_and_b64 s[24:25], s[24:25], s[20:21]
	s_mul_i32 s15, s25, 24
	s_mul_hi_u32 s25, s24, 24
	s_mul_i32 s24, s24, 24
	s_add_i32 s15, s25, s15
	v_mov_b32_e32 v0, s15
	v_add_co_u32_e32 v6, vcc, s24, v22
	v_addc_co_u32_e32 v7, vcc, v23, v0, vcc
	global_store_dwordx2 v[6:7], v[12:13], off
	s_waitcnt vmcnt(0)
	global_atomic_cmpswap_x2 v[2:3], v26, v[10:13], s[6:7] offset:32 glc
	s_waitcnt vmcnt(0)
	v_cmp_ne_u64_e32 vcc, v[2:3], v[12:13]
	s_and_saveexec_b64 s[24:25], vcc
	s_cbranch_execz .LBB4_1418
; %bb.1416:                             ;   in Loop: Header=BB4_1351 Depth=1
	s_mov_b64 s[26:27], 0
.LBB4_1417:                             ;   Parent Loop BB4_1351 Depth=1
                                        ; =>  This Inner Loop Header: Depth=2
	s_sleep 1
	global_store_dwordx2 v[6:7], v[2:3], off
	v_mov_b32_e32 v0, s20
	v_mov_b32_e32 v1, s21
	s_waitcnt vmcnt(0)
	global_atomic_cmpswap_x2 v[0:1], v26, v[0:3], s[6:7] offset:32 glc
	s_waitcnt vmcnt(0)
	v_cmp_eq_u64_e32 vcc, v[0:1], v[2:3]
	v_mov_b32_e32 v3, v1
	s_or_b64 s[26:27], vcc, s[26:27]
	v_mov_b32_e32 v2, v0
	s_andn2_b64 exec, exec, s[26:27]
	s_cbranch_execnz .LBB4_1417
.LBB4_1418:                             ;   in Loop: Header=BB4_1351 Depth=1
	s_or_b64 exec, exec, s[24:25]
	global_load_dwordx2 v[0:1], v26, s[6:7] offset:16
	s_mov_b64 s[26:27], exec
	v_mbcnt_lo_u32_b32 v2, s26, 0
	v_mbcnt_hi_u32_b32 v2, s27, v2
	v_cmp_eq_u32_e32 vcc, 0, v2
	s_and_saveexec_b64 s[24:25], vcc
	s_cbranch_execz .LBB4_1420
; %bb.1419:                             ;   in Loop: Header=BB4_1351 Depth=1
	s_bcnt1_i32_b64 s15, s[26:27]
	v_mov_b32_e32 v25, s15
	s_waitcnt vmcnt(0)
	global_atomic_add_x2 v[0:1], v[25:26], off offset:8
.LBB4_1420:                             ;   in Loop: Header=BB4_1351 Depth=1
	s_or_b64 exec, exec, s[24:25]
	s_waitcnt vmcnt(0)
	global_load_dwordx2 v[2:3], v[0:1], off offset:16
	s_waitcnt vmcnt(0)
	v_cmp_eq_u64_e32 vcc, 0, v[2:3]
	s_cbranch_vccnz .LBB4_1422
; %bb.1421:                             ;   in Loop: Header=BB4_1351 Depth=1
	global_load_dword v25, v[0:1], off offset:24
	s_waitcnt vmcnt(0)
	v_and_b32_e32 v0, 0xffffff, v25
	v_readfirstlane_b32 m0, v0
	global_store_dwordx2 v[2:3], v[25:26], off
	s_sendmsg sendmsg(MSG_INTERRUPT)
.LBB4_1422:                             ;   in Loop: Header=BB4_1351 Depth=1
	s_or_b64 exec, exec, s[22:23]
	v_add_co_u32_e32 v0, vcc, v24, v31
	v_addc_co_u32_e32 v1, vcc, 0, v30, vcc
	s_branch .LBB4_1426
.LBB4_1423:                             ;   in Loop: Header=BB4_1426 Depth=2
	s_or_b64 exec, exec, s[22:23]
	v_readfirstlane_b32 s15, v2
	s_cmp_eq_u32 s15, 0
	s_cbranch_scc1 .LBB4_1425
; %bb.1424:                             ;   in Loop: Header=BB4_1426 Depth=2
	s_sleep 1
	s_cbranch_execnz .LBB4_1426
	s_branch .LBB4_1428
.LBB4_1425:                             ;   in Loop: Header=BB4_1351 Depth=1
	s_branch .LBB4_1428
.LBB4_1426:                             ;   Parent Loop BB4_1351 Depth=1
                                        ; =>  This Inner Loop Header: Depth=2
	v_mov_b32_e32 v2, 1
	s_and_saveexec_b64 s[22:23], s[4:5]
	s_cbranch_execz .LBB4_1423
; %bb.1427:                             ;   in Loop: Header=BB4_1426 Depth=2
	global_load_dword v2, v[27:28], off offset:20 glc
	s_waitcnt vmcnt(0)
	buffer_wbinvl1_vol
	v_and_b32_e32 v2, 1, v2
	s_branch .LBB4_1423
.LBB4_1428:                             ;   in Loop: Header=BB4_1351 Depth=1
	global_load_dwordx4 v[0:3], v[0:1], off
	s_and_saveexec_b64 s[22:23], s[4:5]
	s_cbranch_execz .LBB4_1350
; %bb.1429:                             ;   in Loop: Header=BB4_1351 Depth=1
	global_load_dwordx2 v[2:3], v26, s[6:7] offset:40
	global_load_dwordx2 v[6:7], v26, s[6:7] offset:24 glc
	global_load_dwordx2 v[13:14], v26, s[6:7]
	v_mov_b32_e32 v11, s21
	s_waitcnt vmcnt(2)
	v_add_co_u32_e32 v12, vcc, 1, v2
	v_addc_co_u32_e32 v15, vcc, 0, v3, vcc
	v_add_co_u32_e32 v10, vcc, s20, v12
	v_addc_co_u32_e32 v11, vcc, v15, v11, vcc
	v_cmp_eq_u64_e32 vcc, 0, v[10:11]
	v_cndmask_b32_e32 v11, v11, v15, vcc
	v_cndmask_b32_e32 v10, v10, v12, vcc
	v_and_b32_e32 v3, v11, v3
	v_and_b32_e32 v2, v10, v2
	v_mul_lo_u32 v3, v3, 24
	v_mul_hi_u32 v15, v2, 24
	v_mul_lo_u32 v2, v2, 24
	s_waitcnt vmcnt(1)
	v_mov_b32_e32 v12, v6
	v_add_u32_e32 v3, v15, v3
	s_waitcnt vmcnt(0)
	v_add_co_u32_e32 v2, vcc, v13, v2
	v_addc_co_u32_e32 v3, vcc, v14, v3, vcc
	global_store_dwordx2 v[2:3], v[6:7], off
	v_mov_b32_e32 v13, v7
	s_waitcnt vmcnt(0)
	global_atomic_cmpswap_x2 v[12:13], v26, v[10:13], s[6:7] offset:24 glc
	s_waitcnt vmcnt(0)
	v_cmp_ne_u64_e32 vcc, v[12:13], v[6:7]
	s_and_b64 exec, exec, vcc
	s_cbranch_execz .LBB4_1350
; %bb.1430:                             ;   in Loop: Header=BB4_1351 Depth=1
	s_mov_b64 s[4:5], 0
.LBB4_1431:                             ;   Parent Loop BB4_1351 Depth=1
                                        ; =>  This Inner Loop Header: Depth=2
	s_sleep 1
	global_store_dwordx2 v[2:3], v[12:13], off
	s_waitcnt vmcnt(0)
	global_atomic_cmpswap_x2 v[6:7], v26, v[10:13], s[6:7] offset:24 glc
	s_waitcnt vmcnt(0)
	v_cmp_eq_u64_e32 vcc, v[6:7], v[12:13]
	v_mov_b32_e32 v13, v7
	s_or_b64 s[4:5], vcc, s[4:5]
	v_mov_b32_e32 v12, v6
	s_andn2_b64 exec, exec, s[4:5]
	s_cbranch_execnz .LBB4_1431
	s_branch .LBB4_1350
.LBB4_1432:
	s_branch .LBB4_1460
.LBB4_1433:
                                        ; implicit-def: $vgpr0_vgpr1
	s_cbranch_execz .LBB4_1460
; %bb.1434:
	v_readfirstlane_b32 s4, v32
	v_mov_b32_e32 v7, 0
	v_mov_b32_e32 v8, 0
	v_cmp_eq_u32_e64 s[4:5], s4, v32
	s_and_saveexec_b64 s[10:11], s[4:5]
	s_cbranch_execz .LBB4_1440
; %bb.1435:
	s_waitcnt vmcnt(0)
	v_mov_b32_e32 v0, 0
	global_load_dwordx2 v[9:10], v0, s[6:7] offset:24 glc
	s_waitcnt vmcnt(0)
	buffer_wbinvl1_vol
	global_load_dwordx2 v[1:2], v0, s[6:7] offset:40
	global_load_dwordx2 v[6:7], v0, s[6:7]
	s_waitcnt vmcnt(1)
	v_and_b32_e32 v1, v1, v9
	v_and_b32_e32 v2, v2, v10
	v_mul_lo_u32 v2, v2, 24
	v_mul_hi_u32 v3, v1, 24
	v_mul_lo_u32 v1, v1, 24
	v_add_u32_e32 v2, v3, v2
	s_waitcnt vmcnt(0)
	v_add_co_u32_e32 v1, vcc, v6, v1
	v_addc_co_u32_e32 v2, vcc, v7, v2, vcc
	global_load_dwordx2 v[7:8], v[1:2], off glc
	s_waitcnt vmcnt(0)
	global_atomic_cmpswap_x2 v[7:8], v0, v[7:10], s[6:7] offset:24 glc
	s_waitcnt vmcnt(0)
	buffer_wbinvl1_vol
	v_cmp_ne_u64_e32 vcc, v[7:8], v[9:10]
	s_and_saveexec_b64 s[16:17], vcc
	s_cbranch_execz .LBB4_1439
; %bb.1436:
	s_mov_b64 s[18:19], 0
.LBB4_1437:                             ; =>This Inner Loop Header: Depth=1
	s_sleep 1
	global_load_dwordx2 v[1:2], v0, s[6:7] offset:40
	global_load_dwordx2 v[11:12], v0, s[6:7]
	v_mov_b32_e32 v10, v8
	v_mov_b32_e32 v9, v7
	s_waitcnt vmcnt(1)
	v_and_b32_e32 v1, v1, v9
	s_waitcnt vmcnt(0)
	v_mad_u64_u32 v[6:7], s[20:21], v1, 24, v[11:12]
	v_and_b32_e32 v2, v2, v10
	v_mov_b32_e32 v1, v7
	v_mad_u64_u32 v[1:2], s[20:21], v2, 24, v[1:2]
	v_mov_b32_e32 v7, v1
	global_load_dwordx2 v[7:8], v[6:7], off glc
	s_waitcnt vmcnt(0)
	global_atomic_cmpswap_x2 v[7:8], v0, v[7:10], s[6:7] offset:24 glc
	s_waitcnt vmcnt(0)
	buffer_wbinvl1_vol
	v_cmp_eq_u64_e32 vcc, v[7:8], v[9:10]
	s_or_b64 s[18:19], vcc, s[18:19]
	s_andn2_b64 exec, exec, s[18:19]
	s_cbranch_execnz .LBB4_1437
; %bb.1438:
	s_or_b64 exec, exec, s[18:19]
.LBB4_1439:
	s_or_b64 exec, exec, s[16:17]
.LBB4_1440:
	s_or_b64 exec, exec, s[10:11]
	v_mov_b32_e32 v6, 0
	global_load_dwordx2 v[9:10], v6, s[6:7] offset:40
	global_load_dwordx4 v[0:3], v6, s[6:7]
	v_readfirstlane_b32 s10, v7
	v_readfirstlane_b32 s11, v8
	s_mov_b64 s[16:17], exec
	s_waitcnt vmcnt(1)
	v_readfirstlane_b32 s18, v9
	v_readfirstlane_b32 s19, v10
	s_and_b64 s[18:19], s[10:11], s[18:19]
	s_mul_i32 s15, s19, 24
	s_mul_hi_u32 s20, s18, 24
	s_mul_i32 s21, s18, 24
	s_add_i32 s15, s20, s15
	v_mov_b32_e32 v7, s15
	s_waitcnt vmcnt(0)
	v_add_co_u32_e32 v8, vcc, s21, v0
	v_addc_co_u32_e32 v9, vcc, v1, v7, vcc
	s_and_saveexec_b64 s[20:21], s[4:5]
	s_cbranch_execz .LBB4_1442
; %bb.1441:
	v_mov_b32_e32 v10, s16
	v_mov_b32_e32 v11, s17
	;; [unrolled: 1-line block ×4, first 2 shown]
	global_store_dwordx4 v[8:9], v[10:13], off offset:8
.LBB4_1442:
	s_or_b64 exec, exec, s[20:21]
	s_lshl_b64 s[16:17], s[18:19], 12
	v_mov_b32_e32 v7, s17
	v_add_co_u32_e32 v2, vcc, s16, v2
	v_addc_co_u32_e32 v3, vcc, v3, v7, vcc
	s_movk_i32 s15, 0xff1f
	v_and_or_b32 v4, v4, s15, 32
	v_add_co_u32_e32 v10, vcc, v2, v31
	s_mov_b32 s16, 0
	v_mov_b32_e32 v7, v6
	v_readfirstlane_b32 s20, v2
	v_readfirstlane_b32 s21, v3
	v_addc_co_u32_e32 v11, vcc, 0, v3, vcc
	s_mov_b32 s17, s16
	s_mov_b32 s18, s16
	;; [unrolled: 1-line block ×3, first 2 shown]
	s_nop 0
	global_store_dwordx4 v31, v[4:7], s[20:21]
	v_mov_b32_e32 v2, s16
	v_mov_b32_e32 v3, s17
	;; [unrolled: 1-line block ×4, first 2 shown]
	global_store_dwordx4 v31, v[2:5], s[20:21] offset:16
	global_store_dwordx4 v31, v[2:5], s[20:21] offset:32
	;; [unrolled: 1-line block ×3, first 2 shown]
	s_and_saveexec_b64 s[16:17], s[4:5]
	s_cbranch_execz .LBB4_1450
; %bb.1443:
	v_mov_b32_e32 v6, 0
	global_load_dwordx2 v[14:15], v6, s[6:7] offset:32 glc
	global_load_dwordx2 v[2:3], v6, s[6:7] offset:40
	v_mov_b32_e32 v12, s10
	v_mov_b32_e32 v13, s11
	s_waitcnt vmcnt(0)
	v_readfirstlane_b32 s18, v2
	v_readfirstlane_b32 s19, v3
	s_and_b64 s[18:19], s[18:19], s[10:11]
	s_mul_i32 s15, s19, 24
	s_mul_hi_u32 s19, s18, 24
	s_mul_i32 s18, s18, 24
	s_add_i32 s15, s19, s15
	v_mov_b32_e32 v2, s15
	v_add_co_u32_e32 v4, vcc, s18, v0
	v_addc_co_u32_e32 v5, vcc, v1, v2, vcc
	global_store_dwordx2 v[4:5], v[14:15], off
	s_waitcnt vmcnt(0)
	global_atomic_cmpswap_x2 v[2:3], v6, v[12:15], s[6:7] offset:32 glc
	s_waitcnt vmcnt(0)
	v_cmp_ne_u64_e32 vcc, v[2:3], v[14:15]
	s_and_saveexec_b64 s[18:19], vcc
	s_cbranch_execz .LBB4_1446
; %bb.1444:
	s_mov_b64 s[20:21], 0
.LBB4_1445:                             ; =>This Inner Loop Header: Depth=1
	s_sleep 1
	global_store_dwordx2 v[4:5], v[2:3], off
	v_mov_b32_e32 v0, s10
	v_mov_b32_e32 v1, s11
	s_waitcnt vmcnt(0)
	global_atomic_cmpswap_x2 v[0:1], v6, v[0:3], s[6:7] offset:32 glc
	s_waitcnt vmcnt(0)
	v_cmp_eq_u64_e32 vcc, v[0:1], v[2:3]
	v_mov_b32_e32 v3, v1
	s_or_b64 s[20:21], vcc, s[20:21]
	v_mov_b32_e32 v2, v0
	s_andn2_b64 exec, exec, s[20:21]
	s_cbranch_execnz .LBB4_1445
.LBB4_1446:
	s_or_b64 exec, exec, s[18:19]
	v_mov_b32_e32 v3, 0
	global_load_dwordx2 v[0:1], v3, s[6:7] offset:16
	s_mov_b64 s[18:19], exec
	v_mbcnt_lo_u32_b32 v2, s18, 0
	v_mbcnt_hi_u32_b32 v2, s19, v2
	v_cmp_eq_u32_e32 vcc, 0, v2
	s_and_saveexec_b64 s[20:21], vcc
	s_cbranch_execz .LBB4_1448
; %bb.1447:
	s_bcnt1_i32_b64 s15, s[18:19]
	v_mov_b32_e32 v2, s15
	s_waitcnt vmcnt(0)
	global_atomic_add_x2 v[0:1], v[2:3], off offset:8
.LBB4_1448:
	s_or_b64 exec, exec, s[20:21]
	s_waitcnt vmcnt(0)
	global_load_dwordx2 v[2:3], v[0:1], off offset:16
	s_waitcnt vmcnt(0)
	v_cmp_eq_u64_e32 vcc, 0, v[2:3]
	s_cbranch_vccnz .LBB4_1450
; %bb.1449:
	global_load_dword v0, v[0:1], off offset:24
	v_mov_b32_e32 v1, 0
	s_waitcnt vmcnt(0)
	global_store_dwordx2 v[2:3], v[0:1], off
	v_and_b32_e32 v0, 0xffffff, v0
	v_readfirstlane_b32 m0, v0
	s_sendmsg sendmsg(MSG_INTERRUPT)
.LBB4_1450:
	s_or_b64 exec, exec, s[16:17]
	s_branch .LBB4_1454
.LBB4_1451:                             ;   in Loop: Header=BB4_1454 Depth=1
	s_or_b64 exec, exec, s[16:17]
	v_readfirstlane_b32 s15, v0
	s_cmp_eq_u32 s15, 0
	s_cbranch_scc1 .LBB4_1453
; %bb.1452:                             ;   in Loop: Header=BB4_1454 Depth=1
	s_sleep 1
	s_cbranch_execnz .LBB4_1454
	s_branch .LBB4_1456
.LBB4_1453:
	s_branch .LBB4_1456
.LBB4_1454:                             ; =>This Inner Loop Header: Depth=1
	v_mov_b32_e32 v0, 1
	s_and_saveexec_b64 s[16:17], s[4:5]
	s_cbranch_execz .LBB4_1451
; %bb.1455:                             ;   in Loop: Header=BB4_1454 Depth=1
	global_load_dword v0, v[8:9], off offset:20 glc
	s_waitcnt vmcnt(0)
	buffer_wbinvl1_vol
	v_and_b32_e32 v0, 1, v0
	s_branch .LBB4_1451
.LBB4_1456:
	global_load_dwordx2 v[0:1], v[10:11], off
	s_and_saveexec_b64 s[16:17], s[4:5]
	s_cbranch_execz .LBB4_1459
; %bb.1457:
	v_mov_b32_e32 v8, 0
	global_load_dwordx2 v[4:5], v8, s[6:7] offset:40
	global_load_dwordx2 v[9:10], v8, s[6:7] offset:24 glc
	global_load_dwordx2 v[6:7], v8, s[6:7]
	v_mov_b32_e32 v3, s11
	s_mov_b64 s[4:5], 0
	s_waitcnt vmcnt(2)
	v_add_co_u32_e32 v11, vcc, 1, v4
	v_addc_co_u32_e32 v12, vcc, 0, v5, vcc
	v_add_co_u32_e32 v2, vcc, s10, v11
	v_addc_co_u32_e32 v3, vcc, v12, v3, vcc
	v_cmp_eq_u64_e32 vcc, 0, v[2:3]
	v_cndmask_b32_e32 v3, v3, v12, vcc
	v_cndmask_b32_e32 v2, v2, v11, vcc
	v_and_b32_e32 v5, v3, v5
	v_and_b32_e32 v4, v2, v4
	v_mul_lo_u32 v5, v5, 24
	v_mul_hi_u32 v11, v4, 24
	v_mul_lo_u32 v12, v4, 24
	s_waitcnt vmcnt(1)
	v_mov_b32_e32 v4, v9
	v_add_u32_e32 v5, v11, v5
	s_waitcnt vmcnt(0)
	v_add_co_u32_e32 v6, vcc, v6, v12
	v_addc_co_u32_e32 v7, vcc, v7, v5, vcc
	global_store_dwordx2 v[6:7], v[9:10], off
	v_mov_b32_e32 v5, v10
	s_waitcnt vmcnt(0)
	global_atomic_cmpswap_x2 v[4:5], v8, v[2:5], s[6:7] offset:24 glc
	s_waitcnt vmcnt(0)
	v_cmp_ne_u64_e32 vcc, v[4:5], v[9:10]
	s_and_b64 exec, exec, vcc
	s_cbranch_execz .LBB4_1459
.LBB4_1458:                             ; =>This Inner Loop Header: Depth=1
	s_sleep 1
	global_store_dwordx2 v[6:7], v[4:5], off
	s_waitcnt vmcnt(0)
	global_atomic_cmpswap_x2 v[9:10], v8, v[2:5], s[6:7] offset:24 glc
	s_waitcnt vmcnt(0)
	v_cmp_eq_u64_e32 vcc, v[9:10], v[4:5]
	v_mov_b32_e32 v4, v9
	s_or_b64 s[4:5], vcc, s[4:5]
	v_mov_b32_e32 v5, v10
	s_andn2_b64 exec, exec, s[4:5]
	s_cbranch_execnz .LBB4_1458
.LBB4_1459:
	s_or_b64 exec, exec, s[16:17]
.LBB4_1460:
	s_getpc_b64 s[10:11]
	s_add_u32 s10, s10, .str.2@rel32@lo+4
	s_addc_u32 s11, s11, .str.2@rel32@hi+12
	s_cmp_lg_u64 s[10:11], 0
	s_cbranch_scc0 .LBB4_1545
; %bb.1461:
	s_waitcnt vmcnt(0)
	v_and_b32_e32 v6, -3, v0
	v_mov_b32_e32 v7, v1
	s_mov_b64 s[16:17], 13
	v_mov_b32_e32 v26, 0
	v_mov_b32_e32 v4, 2
	;; [unrolled: 1-line block ×3, first 2 shown]
	s_branch .LBB4_1463
.LBB4_1462:                             ;   in Loop: Header=BB4_1463 Depth=1
	s_or_b64 exec, exec, s[22:23]
	s_sub_u32 s16, s16, s18
	s_subb_u32 s17, s17, s19
	s_add_u32 s10, s10, s18
	s_addc_u32 s11, s11, s19
	s_cmp_lg_u64 s[16:17], 0
	s_cbranch_scc0 .LBB4_1544
.LBB4_1463:                             ; =>This Loop Header: Depth=1
                                        ;     Child Loop BB4_1466 Depth 2
                                        ;     Child Loop BB4_1473 Depth 2
	;; [unrolled: 1-line block ×11, first 2 shown]
	v_cmp_lt_u64_e64 s[4:5], s[16:17], 56
	v_cmp_gt_u64_e64 s[20:21], s[16:17], 7
	s_and_b64 s[4:5], s[4:5], exec
	s_cselect_b32 s19, s17, 0
	s_cselect_b32 s18, s16, 56
	s_and_b64 vcc, exec, s[20:21]
	s_cbranch_vccnz .LBB4_1468
; %bb.1464:                             ;   in Loop: Header=BB4_1463 Depth=1
	s_waitcnt vmcnt(0)
	v_mov_b32_e32 v8, 0
	s_cmp_eq_u64 s[16:17], 0
	v_mov_b32_e32 v9, 0
	s_mov_b64 s[4:5], 0
	s_cbranch_scc1 .LBB4_1467
; %bb.1465:                             ;   in Loop: Header=BB4_1463 Depth=1
	v_mov_b32_e32 v8, 0
	s_lshl_b64 s[20:21], s[18:19], 3
	s_mov_b64 s[22:23], 0
	v_mov_b32_e32 v9, 0
	s_mov_b64 s[24:25], s[10:11]
.LBB4_1466:                             ;   Parent Loop BB4_1463 Depth=1
                                        ; =>  This Inner Loop Header: Depth=2
	global_load_ubyte v2, v26, s[24:25]
	s_waitcnt vmcnt(0)
	v_and_b32_e32 v25, 0xffff, v2
	v_lshlrev_b64 v[2:3], s22, v[25:26]
	s_add_u32 s22, s22, 8
	s_addc_u32 s23, s23, 0
	s_add_u32 s24, s24, 1
	s_addc_u32 s25, s25, 0
	v_or_b32_e32 v8, v2, v8
	s_cmp_lg_u32 s20, s22
	v_or_b32_e32 v9, v3, v9
	s_cbranch_scc1 .LBB4_1466
.LBB4_1467:                             ;   in Loop: Header=BB4_1463 Depth=1
	s_mov_b32 s15, 0
	s_andn2_b64 vcc, exec, s[4:5]
	s_mov_b64 s[4:5], s[10:11]
	s_cbranch_vccz .LBB4_1469
	s_branch .LBB4_1470
.LBB4_1468:                             ;   in Loop: Header=BB4_1463 Depth=1
                                        ; implicit-def: $sgpr15
	s_mov_b64 s[4:5], s[10:11]
.LBB4_1469:                             ;   in Loop: Header=BB4_1463 Depth=1
	global_load_dwordx2 v[8:9], v26, s[10:11]
	s_add_i32 s15, s18, -8
	s_add_u32 s4, s10, 8
	s_addc_u32 s5, s11, 0
.LBB4_1470:                             ;   in Loop: Header=BB4_1463 Depth=1
	s_cmp_gt_u32 s15, 7
	s_cbranch_scc1 .LBB4_1474
; %bb.1471:                             ;   in Loop: Header=BB4_1463 Depth=1
	s_cmp_eq_u32 s15, 0
	s_cbranch_scc1 .LBB4_1475
; %bb.1472:                             ;   in Loop: Header=BB4_1463 Depth=1
	v_mov_b32_e32 v10, 0
	s_mov_b64 s[20:21], 0
	v_mov_b32_e32 v11, 0
	s_mov_b64 s[22:23], 0
.LBB4_1473:                             ;   Parent Loop BB4_1463 Depth=1
                                        ; =>  This Inner Loop Header: Depth=2
	s_add_u32 s24, s4, s22
	s_addc_u32 s25, s5, s23
	global_load_ubyte v2, v26, s[24:25]
	s_add_u32 s22, s22, 1
	s_addc_u32 s23, s23, 0
	s_waitcnt vmcnt(0)
	v_and_b32_e32 v25, 0xffff, v2
	v_lshlrev_b64 v[2:3], s20, v[25:26]
	s_add_u32 s20, s20, 8
	s_addc_u32 s21, s21, 0
	v_or_b32_e32 v10, v2, v10
	s_cmp_lg_u32 s15, s22
	v_or_b32_e32 v11, v3, v11
	s_cbranch_scc1 .LBB4_1473
	s_branch .LBB4_1476
.LBB4_1474:                             ;   in Loop: Header=BB4_1463 Depth=1
                                        ; implicit-def: $vgpr10_vgpr11
                                        ; implicit-def: $sgpr24
	s_branch .LBB4_1477
.LBB4_1475:                             ;   in Loop: Header=BB4_1463 Depth=1
	v_mov_b32_e32 v10, 0
	v_mov_b32_e32 v11, 0
.LBB4_1476:                             ;   in Loop: Header=BB4_1463 Depth=1
	s_mov_b32 s24, 0
	s_cbranch_execnz .LBB4_1478
.LBB4_1477:                             ;   in Loop: Header=BB4_1463 Depth=1
	global_load_dwordx2 v[10:11], v26, s[4:5]
	s_add_i32 s24, s15, -8
	s_add_u32 s4, s4, 8
	s_addc_u32 s5, s5, 0
.LBB4_1478:                             ;   in Loop: Header=BB4_1463 Depth=1
	s_cmp_gt_u32 s24, 7
	s_cbranch_scc1 .LBB4_1482
; %bb.1479:                             ;   in Loop: Header=BB4_1463 Depth=1
	s_cmp_eq_u32 s24, 0
	s_cbranch_scc1 .LBB4_1483
; %bb.1480:                             ;   in Loop: Header=BB4_1463 Depth=1
	v_mov_b32_e32 v12, 0
	s_mov_b64 s[20:21], 0
	v_mov_b32_e32 v13, 0
	s_mov_b64 s[22:23], 0
.LBB4_1481:                             ;   Parent Loop BB4_1463 Depth=1
                                        ; =>  This Inner Loop Header: Depth=2
	s_add_u32 s26, s4, s22
	s_addc_u32 s27, s5, s23
	global_load_ubyte v2, v26, s[26:27]
	s_add_u32 s22, s22, 1
	s_addc_u32 s23, s23, 0
	s_waitcnt vmcnt(0)
	v_and_b32_e32 v25, 0xffff, v2
	v_lshlrev_b64 v[2:3], s20, v[25:26]
	s_add_u32 s20, s20, 8
	s_addc_u32 s21, s21, 0
	v_or_b32_e32 v12, v2, v12
	s_cmp_lg_u32 s24, s22
	v_or_b32_e32 v13, v3, v13
	s_cbranch_scc1 .LBB4_1481
	s_branch .LBB4_1484
.LBB4_1482:                             ;   in Loop: Header=BB4_1463 Depth=1
                                        ; implicit-def: $sgpr15
	s_branch .LBB4_1485
.LBB4_1483:                             ;   in Loop: Header=BB4_1463 Depth=1
	v_mov_b32_e32 v12, 0
	v_mov_b32_e32 v13, 0
.LBB4_1484:                             ;   in Loop: Header=BB4_1463 Depth=1
	s_mov_b32 s15, 0
	s_cbranch_execnz .LBB4_1486
.LBB4_1485:                             ;   in Loop: Header=BB4_1463 Depth=1
	global_load_dwordx2 v[12:13], v26, s[4:5]
	s_add_i32 s15, s24, -8
	s_add_u32 s4, s4, 8
	s_addc_u32 s5, s5, 0
.LBB4_1486:                             ;   in Loop: Header=BB4_1463 Depth=1
	s_cmp_gt_u32 s15, 7
	s_cbranch_scc1 .LBB4_1490
; %bb.1487:                             ;   in Loop: Header=BB4_1463 Depth=1
	s_cmp_eq_u32 s15, 0
	s_cbranch_scc1 .LBB4_1491
; %bb.1488:                             ;   in Loop: Header=BB4_1463 Depth=1
	v_mov_b32_e32 v14, 0
	s_mov_b64 s[20:21], 0
	v_mov_b32_e32 v15, 0
	s_mov_b64 s[22:23], 0
.LBB4_1489:                             ;   Parent Loop BB4_1463 Depth=1
                                        ; =>  This Inner Loop Header: Depth=2
	s_add_u32 s24, s4, s22
	s_addc_u32 s25, s5, s23
	global_load_ubyte v2, v26, s[24:25]
	s_add_u32 s22, s22, 1
	s_addc_u32 s23, s23, 0
	s_waitcnt vmcnt(0)
	v_and_b32_e32 v25, 0xffff, v2
	v_lshlrev_b64 v[2:3], s20, v[25:26]
	s_add_u32 s20, s20, 8
	s_addc_u32 s21, s21, 0
	v_or_b32_e32 v14, v2, v14
	s_cmp_lg_u32 s15, s22
	v_or_b32_e32 v15, v3, v15
	s_cbranch_scc1 .LBB4_1489
	s_branch .LBB4_1492
.LBB4_1490:                             ;   in Loop: Header=BB4_1463 Depth=1
                                        ; implicit-def: $vgpr14_vgpr15
                                        ; implicit-def: $sgpr24
	s_branch .LBB4_1493
.LBB4_1491:                             ;   in Loop: Header=BB4_1463 Depth=1
	v_mov_b32_e32 v14, 0
	v_mov_b32_e32 v15, 0
.LBB4_1492:                             ;   in Loop: Header=BB4_1463 Depth=1
	s_mov_b32 s24, 0
	s_cbranch_execnz .LBB4_1494
.LBB4_1493:                             ;   in Loop: Header=BB4_1463 Depth=1
	global_load_dwordx2 v[14:15], v26, s[4:5]
	s_add_i32 s24, s15, -8
	s_add_u32 s4, s4, 8
	s_addc_u32 s5, s5, 0
.LBB4_1494:                             ;   in Loop: Header=BB4_1463 Depth=1
	s_cmp_gt_u32 s24, 7
	s_cbranch_scc1 .LBB4_1498
; %bb.1495:                             ;   in Loop: Header=BB4_1463 Depth=1
	s_cmp_eq_u32 s24, 0
	s_cbranch_scc1 .LBB4_1499
; %bb.1496:                             ;   in Loop: Header=BB4_1463 Depth=1
	v_mov_b32_e32 v16, 0
	s_mov_b64 s[20:21], 0
	v_mov_b32_e32 v17, 0
	s_mov_b64 s[22:23], 0
.LBB4_1497:                             ;   Parent Loop BB4_1463 Depth=1
                                        ; =>  This Inner Loop Header: Depth=2
	s_add_u32 s26, s4, s22
	s_addc_u32 s27, s5, s23
	global_load_ubyte v2, v26, s[26:27]
	s_add_u32 s22, s22, 1
	s_addc_u32 s23, s23, 0
	s_waitcnt vmcnt(0)
	v_and_b32_e32 v25, 0xffff, v2
	v_lshlrev_b64 v[2:3], s20, v[25:26]
	s_add_u32 s20, s20, 8
	s_addc_u32 s21, s21, 0
	v_or_b32_e32 v16, v2, v16
	s_cmp_lg_u32 s24, s22
	v_or_b32_e32 v17, v3, v17
	s_cbranch_scc1 .LBB4_1497
	s_branch .LBB4_1500
.LBB4_1498:                             ;   in Loop: Header=BB4_1463 Depth=1
                                        ; implicit-def: $sgpr15
	s_branch .LBB4_1501
.LBB4_1499:                             ;   in Loop: Header=BB4_1463 Depth=1
	v_mov_b32_e32 v16, 0
	v_mov_b32_e32 v17, 0
.LBB4_1500:                             ;   in Loop: Header=BB4_1463 Depth=1
	s_mov_b32 s15, 0
	s_cbranch_execnz .LBB4_1502
.LBB4_1501:                             ;   in Loop: Header=BB4_1463 Depth=1
	global_load_dwordx2 v[16:17], v26, s[4:5]
	s_add_i32 s15, s24, -8
	s_add_u32 s4, s4, 8
	s_addc_u32 s5, s5, 0
.LBB4_1502:                             ;   in Loop: Header=BB4_1463 Depth=1
	s_cmp_gt_u32 s15, 7
	s_cbranch_scc1 .LBB4_1506
; %bb.1503:                             ;   in Loop: Header=BB4_1463 Depth=1
	s_cmp_eq_u32 s15, 0
	s_cbranch_scc1 .LBB4_1507
; %bb.1504:                             ;   in Loop: Header=BB4_1463 Depth=1
	v_mov_b32_e32 v18, 0
	s_mov_b64 s[20:21], 0
	v_mov_b32_e32 v19, 0
	s_mov_b64 s[22:23], 0
.LBB4_1505:                             ;   Parent Loop BB4_1463 Depth=1
                                        ; =>  This Inner Loop Header: Depth=2
	s_add_u32 s24, s4, s22
	s_addc_u32 s25, s5, s23
	global_load_ubyte v2, v26, s[24:25]
	s_add_u32 s22, s22, 1
	s_addc_u32 s23, s23, 0
	s_waitcnt vmcnt(0)
	v_and_b32_e32 v25, 0xffff, v2
	v_lshlrev_b64 v[2:3], s20, v[25:26]
	s_add_u32 s20, s20, 8
	s_addc_u32 s21, s21, 0
	v_or_b32_e32 v18, v2, v18
	s_cmp_lg_u32 s15, s22
	v_or_b32_e32 v19, v3, v19
	s_cbranch_scc1 .LBB4_1505
	s_branch .LBB4_1508
.LBB4_1506:                             ;   in Loop: Header=BB4_1463 Depth=1
                                        ; implicit-def: $vgpr18_vgpr19
                                        ; implicit-def: $sgpr24
	s_branch .LBB4_1509
.LBB4_1507:                             ;   in Loop: Header=BB4_1463 Depth=1
	v_mov_b32_e32 v18, 0
	v_mov_b32_e32 v19, 0
.LBB4_1508:                             ;   in Loop: Header=BB4_1463 Depth=1
	s_mov_b32 s24, 0
	s_cbranch_execnz .LBB4_1510
.LBB4_1509:                             ;   in Loop: Header=BB4_1463 Depth=1
	global_load_dwordx2 v[18:19], v26, s[4:5]
	s_add_i32 s24, s15, -8
	s_add_u32 s4, s4, 8
	s_addc_u32 s5, s5, 0
.LBB4_1510:                             ;   in Loop: Header=BB4_1463 Depth=1
	s_cmp_gt_u32 s24, 7
	s_cbranch_scc1 .LBB4_1514
; %bb.1511:                             ;   in Loop: Header=BB4_1463 Depth=1
	s_cmp_eq_u32 s24, 0
	s_cbranch_scc1 .LBB4_1515
; %bb.1512:                             ;   in Loop: Header=BB4_1463 Depth=1
	v_mov_b32_e32 v20, 0
	s_mov_b64 s[20:21], 0
	v_mov_b32_e32 v21, 0
	s_mov_b64 s[22:23], s[4:5]
.LBB4_1513:                             ;   Parent Loop BB4_1463 Depth=1
                                        ; =>  This Inner Loop Header: Depth=2
	global_load_ubyte v2, v26, s[22:23]
	s_add_i32 s24, s24, -1
	s_waitcnt vmcnt(0)
	v_and_b32_e32 v25, 0xffff, v2
	v_lshlrev_b64 v[2:3], s20, v[25:26]
	s_add_u32 s20, s20, 8
	s_addc_u32 s21, s21, 0
	s_add_u32 s22, s22, 1
	s_addc_u32 s23, s23, 0
	v_or_b32_e32 v20, v2, v20
	s_cmp_lg_u32 s24, 0
	v_or_b32_e32 v21, v3, v21
	s_cbranch_scc1 .LBB4_1513
	s_branch .LBB4_1516
.LBB4_1514:                             ;   in Loop: Header=BB4_1463 Depth=1
	s_branch .LBB4_1517
.LBB4_1515:                             ;   in Loop: Header=BB4_1463 Depth=1
	v_mov_b32_e32 v20, 0
	v_mov_b32_e32 v21, 0
.LBB4_1516:                             ;   in Loop: Header=BB4_1463 Depth=1
	s_cbranch_execnz .LBB4_1518
.LBB4_1517:                             ;   in Loop: Header=BB4_1463 Depth=1
	global_load_dwordx2 v[20:21], v26, s[4:5]
.LBB4_1518:                             ;   in Loop: Header=BB4_1463 Depth=1
	v_readfirstlane_b32 s4, v32
	v_mov_b32_e32 v2, 0
	v_mov_b32_e32 v3, 0
	v_cmp_eq_u32_e64 s[4:5], s4, v32
	s_and_saveexec_b64 s[20:21], s[4:5]
	s_cbranch_execz .LBB4_1524
; %bb.1519:                             ;   in Loop: Header=BB4_1463 Depth=1
	global_load_dwordx2 v[24:25], v26, s[6:7] offset:24 glc
	s_waitcnt vmcnt(0)
	buffer_wbinvl1_vol
	global_load_dwordx2 v[2:3], v26, s[6:7] offset:40
	global_load_dwordx2 v[22:23], v26, s[6:7]
	s_waitcnt vmcnt(1)
	v_and_b32_e32 v2, v2, v24
	v_and_b32_e32 v3, v3, v25
	v_mul_lo_u32 v3, v3, 24
	v_mul_hi_u32 v27, v2, 24
	v_mul_lo_u32 v2, v2, 24
	v_add_u32_e32 v3, v27, v3
	s_waitcnt vmcnt(0)
	v_add_co_u32_e32 v2, vcc, v22, v2
	v_addc_co_u32_e32 v3, vcc, v23, v3, vcc
	global_load_dwordx2 v[22:23], v[2:3], off glc
	s_waitcnt vmcnt(0)
	global_atomic_cmpswap_x2 v[2:3], v26, v[22:25], s[6:7] offset:24 glc
	s_waitcnt vmcnt(0)
	buffer_wbinvl1_vol
	v_cmp_ne_u64_e32 vcc, v[2:3], v[24:25]
	s_and_saveexec_b64 s[22:23], vcc
	s_cbranch_execz .LBB4_1523
; %bb.1520:                             ;   in Loop: Header=BB4_1463 Depth=1
	s_mov_b64 s[24:25], 0
.LBB4_1521:                             ;   Parent Loop BB4_1463 Depth=1
                                        ; =>  This Inner Loop Header: Depth=2
	s_sleep 1
	global_load_dwordx2 v[22:23], v26, s[6:7] offset:40
	global_load_dwordx2 v[27:28], v26, s[6:7]
	v_mov_b32_e32 v25, v3
	v_mov_b32_e32 v24, v2
	s_waitcnt vmcnt(1)
	v_and_b32_e32 v2, v22, v24
	s_waitcnt vmcnt(0)
	v_mad_u64_u32 v[2:3], s[26:27], v2, 24, v[27:28]
	v_and_b32_e32 v22, v23, v25
	v_mad_u64_u32 v[22:23], s[26:27], v22, 24, v[3:4]
	v_mov_b32_e32 v3, v22
	global_load_dwordx2 v[22:23], v[2:3], off glc
	s_waitcnt vmcnt(0)
	global_atomic_cmpswap_x2 v[2:3], v26, v[22:25], s[6:7] offset:24 glc
	s_waitcnt vmcnt(0)
	buffer_wbinvl1_vol
	v_cmp_eq_u64_e32 vcc, v[2:3], v[24:25]
	s_or_b64 s[24:25], vcc, s[24:25]
	s_andn2_b64 exec, exec, s[24:25]
	s_cbranch_execnz .LBB4_1521
; %bb.1522:                             ;   in Loop: Header=BB4_1463 Depth=1
	s_or_b64 exec, exec, s[24:25]
.LBB4_1523:                             ;   in Loop: Header=BB4_1463 Depth=1
	s_or_b64 exec, exec, s[22:23]
.LBB4_1524:                             ;   in Loop: Header=BB4_1463 Depth=1
	s_or_b64 exec, exec, s[20:21]
	global_load_dwordx2 v[27:28], v26, s[6:7] offset:40
	global_load_dwordx4 v[22:25], v26, s[6:7]
	v_readfirstlane_b32 s20, v2
	v_readfirstlane_b32 s21, v3
	s_mov_b64 s[22:23], exec
	s_waitcnt vmcnt(1)
	v_readfirstlane_b32 s24, v27
	v_readfirstlane_b32 s25, v28
	s_and_b64 s[24:25], s[20:21], s[24:25]
	s_mul_i32 s15, s25, 24
	s_mul_hi_u32 s26, s24, 24
	s_mul_i32 s27, s24, 24
	s_add_i32 s15, s26, s15
	v_mov_b32_e32 v2, s15
	s_waitcnt vmcnt(0)
	v_add_co_u32_e32 v27, vcc, s27, v22
	v_addc_co_u32_e32 v28, vcc, v23, v2, vcc
	s_and_saveexec_b64 s[26:27], s[4:5]
	s_cbranch_execz .LBB4_1526
; %bb.1525:                             ;   in Loop: Header=BB4_1463 Depth=1
	v_mov_b32_e32 v2, s22
	v_mov_b32_e32 v3, s23
	global_store_dwordx4 v[27:28], v[2:5], off offset:8
.LBB4_1526:                             ;   in Loop: Header=BB4_1463 Depth=1
	s_or_b64 exec, exec, s[26:27]
	s_lshl_b64 s[22:23], s[24:25], 12
	v_mov_b32_e32 v2, s23
	v_add_co_u32_e32 v24, vcc, s22, v24
	v_addc_co_u32_e32 v29, vcc, v25, v2, vcc
	v_cmp_gt_u64_e64 vcc, s[16:17], 56
	v_or_b32_e32 v2, 2, v6
	s_lshl_b32 s15, s18, 2
	v_cndmask_b32_e32 v2, v2, v6, vcc
	s_add_i32 s15, s15, 28
	s_and_b32 s15, s15, 0x1e0
	v_and_b32_e32 v2, 0xffffff1f, v2
	v_or_b32_e32 v6, s15, v2
	v_readfirstlane_b32 s22, v24
	v_readfirstlane_b32 s23, v29
	s_nop 4
	global_store_dwordx4 v31, v[6:9], s[22:23]
	global_store_dwordx4 v31, v[10:13], s[22:23] offset:16
	global_store_dwordx4 v31, v[14:17], s[22:23] offset:32
	;; [unrolled: 1-line block ×3, first 2 shown]
	s_and_saveexec_b64 s[22:23], s[4:5]
	s_cbranch_execz .LBB4_1534
; %bb.1527:                             ;   in Loop: Header=BB4_1463 Depth=1
	global_load_dwordx2 v[10:11], v26, s[6:7] offset:32 glc
	global_load_dwordx2 v[2:3], v26, s[6:7] offset:40
	v_mov_b32_e32 v8, s20
	v_mov_b32_e32 v9, s21
	s_waitcnt vmcnt(0)
	v_readfirstlane_b32 s24, v2
	v_readfirstlane_b32 s25, v3
	s_and_b64 s[24:25], s[24:25], s[20:21]
	s_mul_i32 s15, s25, 24
	s_mul_hi_u32 s25, s24, 24
	s_mul_i32 s24, s24, 24
	s_add_i32 s15, s25, s15
	v_mov_b32_e32 v3, s15
	v_add_co_u32_e32 v2, vcc, s24, v22
	v_addc_co_u32_e32 v3, vcc, v23, v3, vcc
	global_store_dwordx2 v[2:3], v[10:11], off
	s_waitcnt vmcnt(0)
	global_atomic_cmpswap_x2 v[8:9], v26, v[8:11], s[6:7] offset:32 glc
	s_waitcnt vmcnt(0)
	v_cmp_ne_u64_e32 vcc, v[8:9], v[10:11]
	s_and_saveexec_b64 s[24:25], vcc
	s_cbranch_execz .LBB4_1530
; %bb.1528:                             ;   in Loop: Header=BB4_1463 Depth=1
	s_mov_b64 s[26:27], 0
.LBB4_1529:                             ;   Parent Loop BB4_1463 Depth=1
                                        ; =>  This Inner Loop Header: Depth=2
	s_sleep 1
	global_store_dwordx2 v[2:3], v[8:9], off
	v_mov_b32_e32 v6, s20
	v_mov_b32_e32 v7, s21
	s_waitcnt vmcnt(0)
	global_atomic_cmpswap_x2 v[6:7], v26, v[6:9], s[6:7] offset:32 glc
	s_waitcnt vmcnt(0)
	v_cmp_eq_u64_e32 vcc, v[6:7], v[8:9]
	v_mov_b32_e32 v9, v7
	s_or_b64 s[26:27], vcc, s[26:27]
	v_mov_b32_e32 v8, v6
	s_andn2_b64 exec, exec, s[26:27]
	s_cbranch_execnz .LBB4_1529
.LBB4_1530:                             ;   in Loop: Header=BB4_1463 Depth=1
	s_or_b64 exec, exec, s[24:25]
	global_load_dwordx2 v[2:3], v26, s[6:7] offset:16
	s_mov_b64 s[26:27], exec
	v_mbcnt_lo_u32_b32 v6, s26, 0
	v_mbcnt_hi_u32_b32 v6, s27, v6
	v_cmp_eq_u32_e32 vcc, 0, v6
	s_and_saveexec_b64 s[24:25], vcc
	s_cbranch_execz .LBB4_1532
; %bb.1531:                             ;   in Loop: Header=BB4_1463 Depth=1
	s_bcnt1_i32_b64 s15, s[26:27]
	v_mov_b32_e32 v25, s15
	s_waitcnt vmcnt(0)
	global_atomic_add_x2 v[2:3], v[25:26], off offset:8
.LBB4_1532:                             ;   in Loop: Header=BB4_1463 Depth=1
	s_or_b64 exec, exec, s[24:25]
	s_waitcnt vmcnt(0)
	global_load_dwordx2 v[6:7], v[2:3], off offset:16
	s_waitcnt vmcnt(0)
	v_cmp_eq_u64_e32 vcc, 0, v[6:7]
	s_cbranch_vccnz .LBB4_1534
; %bb.1533:                             ;   in Loop: Header=BB4_1463 Depth=1
	global_load_dword v25, v[2:3], off offset:24
	s_waitcnt vmcnt(0)
	v_and_b32_e32 v2, 0xffffff, v25
	v_readfirstlane_b32 m0, v2
	global_store_dwordx2 v[6:7], v[25:26], off
	s_sendmsg sendmsg(MSG_INTERRUPT)
.LBB4_1534:                             ;   in Loop: Header=BB4_1463 Depth=1
	s_or_b64 exec, exec, s[22:23]
	v_add_co_u32_e32 v2, vcc, v24, v31
	v_addc_co_u32_e32 v3, vcc, 0, v29, vcc
	s_branch .LBB4_1538
.LBB4_1535:                             ;   in Loop: Header=BB4_1538 Depth=2
	s_or_b64 exec, exec, s[22:23]
	v_readfirstlane_b32 s15, v6
	s_cmp_eq_u32 s15, 0
	s_cbranch_scc1 .LBB4_1537
; %bb.1536:                             ;   in Loop: Header=BB4_1538 Depth=2
	s_sleep 1
	s_cbranch_execnz .LBB4_1538
	s_branch .LBB4_1540
.LBB4_1537:                             ;   in Loop: Header=BB4_1463 Depth=1
	s_branch .LBB4_1540
.LBB4_1538:                             ;   Parent Loop BB4_1463 Depth=1
                                        ; =>  This Inner Loop Header: Depth=2
	v_mov_b32_e32 v6, 1
	s_and_saveexec_b64 s[22:23], s[4:5]
	s_cbranch_execz .LBB4_1535
; %bb.1539:                             ;   in Loop: Header=BB4_1538 Depth=2
	global_load_dword v6, v[27:28], off offset:20 glc
	s_waitcnt vmcnt(0)
	buffer_wbinvl1_vol
	v_and_b32_e32 v6, 1, v6
	s_branch .LBB4_1535
.LBB4_1540:                             ;   in Loop: Header=BB4_1463 Depth=1
	global_load_dwordx4 v[6:9], v[2:3], off
	s_and_saveexec_b64 s[22:23], s[4:5]
	s_cbranch_execz .LBB4_1462
; %bb.1541:                             ;   in Loop: Header=BB4_1463 Depth=1
	global_load_dwordx2 v[2:3], v26, s[6:7] offset:40
	global_load_dwordx2 v[12:13], v26, s[6:7] offset:24 glc
	global_load_dwordx2 v[14:15], v26, s[6:7]
	s_waitcnt vmcnt(3)
	v_mov_b32_e32 v9, s21
	s_waitcnt vmcnt(2)
	v_add_co_u32_e32 v10, vcc, 1, v2
	v_addc_co_u32_e32 v11, vcc, 0, v3, vcc
	v_add_co_u32_e32 v8, vcc, s20, v10
	v_addc_co_u32_e32 v9, vcc, v11, v9, vcc
	v_cmp_eq_u64_e32 vcc, 0, v[8:9]
	v_cndmask_b32_e32 v9, v9, v11, vcc
	v_cndmask_b32_e32 v8, v8, v10, vcc
	v_and_b32_e32 v3, v9, v3
	v_and_b32_e32 v2, v8, v2
	v_mul_lo_u32 v3, v3, 24
	v_mul_hi_u32 v11, v2, 24
	v_mul_lo_u32 v2, v2, 24
	s_waitcnt vmcnt(1)
	v_mov_b32_e32 v10, v12
	v_add_u32_e32 v3, v11, v3
	s_waitcnt vmcnt(0)
	v_add_co_u32_e32 v2, vcc, v14, v2
	v_addc_co_u32_e32 v3, vcc, v15, v3, vcc
	global_store_dwordx2 v[2:3], v[12:13], off
	v_mov_b32_e32 v11, v13
	s_waitcnt vmcnt(0)
	global_atomic_cmpswap_x2 v[10:11], v26, v[8:11], s[6:7] offset:24 glc
	s_waitcnt vmcnt(0)
	v_cmp_ne_u64_e32 vcc, v[10:11], v[12:13]
	s_and_b64 exec, exec, vcc
	s_cbranch_execz .LBB4_1462
; %bb.1542:                             ;   in Loop: Header=BB4_1463 Depth=1
	s_mov_b64 s[4:5], 0
.LBB4_1543:                             ;   Parent Loop BB4_1463 Depth=1
                                        ; =>  This Inner Loop Header: Depth=2
	s_sleep 1
	global_store_dwordx2 v[2:3], v[10:11], off
	s_waitcnt vmcnt(0)
	global_atomic_cmpswap_x2 v[12:13], v26, v[8:11], s[6:7] offset:24 glc
	s_waitcnt vmcnt(0)
	v_cmp_eq_u64_e32 vcc, v[12:13], v[10:11]
	v_mov_b32_e32 v10, v12
	s_or_b64 s[4:5], vcc, s[4:5]
	v_mov_b32_e32 v11, v13
	s_andn2_b64 exec, exec, s[4:5]
	s_cbranch_execnz .LBB4_1543
	s_branch .LBB4_1462
.LBB4_1544:
	s_mov_b64 s[4:5], 0
	s_branch .LBB4_1546
.LBB4_1545:
	s_mov_b64 s[4:5], -1
.LBB4_1546:
	s_mov_b32 s41, s12
	s_mov_b32 s48, s13
	;; [unrolled: 1-line block ×3, first 2 shown]
	s_and_b64 vcc, exec, s[4:5]
	s_cbranch_vccz .LBB4_1573
; %bb.1547:
	v_readfirstlane_b32 s4, v32
	s_waitcnt vmcnt(0)
	v_mov_b32_e32 v8, 0
	v_mov_b32_e32 v9, 0
	v_cmp_eq_u32_e64 s[4:5], s4, v32
	s_and_saveexec_b64 s[10:11], s[4:5]
	s_cbranch_execz .LBB4_1553
; %bb.1548:
	v_mov_b32_e32 v2, 0
	global_load_dwordx2 v[5:6], v2, s[6:7] offset:24 glc
	s_waitcnt vmcnt(0)
	buffer_wbinvl1_vol
	global_load_dwordx2 v[3:4], v2, s[6:7] offset:40
	global_load_dwordx2 v[7:8], v2, s[6:7]
	s_waitcnt vmcnt(1)
	v_and_b32_e32 v3, v3, v5
	v_and_b32_e32 v4, v4, v6
	v_mul_lo_u32 v4, v4, 24
	v_mul_hi_u32 v9, v3, 24
	v_mul_lo_u32 v3, v3, 24
	v_add_u32_e32 v4, v9, v4
	s_waitcnt vmcnt(0)
	v_add_co_u32_e32 v3, vcc, v7, v3
	v_addc_co_u32_e32 v4, vcc, v8, v4, vcc
	global_load_dwordx2 v[3:4], v[3:4], off glc
	s_waitcnt vmcnt(0)
	global_atomic_cmpswap_x2 v[8:9], v2, v[3:6], s[6:7] offset:24 glc
	s_waitcnt vmcnt(0)
	buffer_wbinvl1_vol
	v_cmp_ne_u64_e32 vcc, v[8:9], v[5:6]
	s_and_saveexec_b64 s[12:13], vcc
	s_cbranch_execz .LBB4_1552
; %bb.1549:
	s_mov_b64 s[14:15], 0
.LBB4_1550:                             ; =>This Inner Loop Header: Depth=1
	s_sleep 1
	global_load_dwordx2 v[3:4], v2, s[6:7] offset:40
	global_load_dwordx2 v[10:11], v2, s[6:7]
	v_mov_b32_e32 v5, v8
	v_mov_b32_e32 v6, v9
	s_waitcnt vmcnt(1)
	v_and_b32_e32 v3, v3, v5
	s_waitcnt vmcnt(0)
	v_mad_u64_u32 v[7:8], s[16:17], v3, 24, v[10:11]
	v_and_b32_e32 v4, v4, v6
	v_mov_b32_e32 v3, v8
	v_mad_u64_u32 v[3:4], s[16:17], v4, 24, v[3:4]
	v_mov_b32_e32 v8, v3
	global_load_dwordx2 v[3:4], v[7:8], off glc
	s_waitcnt vmcnt(0)
	global_atomic_cmpswap_x2 v[8:9], v2, v[3:6], s[6:7] offset:24 glc
	s_waitcnt vmcnt(0)
	buffer_wbinvl1_vol
	v_cmp_eq_u64_e32 vcc, v[8:9], v[5:6]
	s_or_b64 s[14:15], vcc, s[14:15]
	s_andn2_b64 exec, exec, s[14:15]
	s_cbranch_execnz .LBB4_1550
; %bb.1551:
	s_or_b64 exec, exec, s[14:15]
.LBB4_1552:
	s_or_b64 exec, exec, s[12:13]
.LBB4_1553:
	s_or_b64 exec, exec, s[10:11]
	v_mov_b32_e32 v2, 0
	global_load_dwordx2 v[10:11], v2, s[6:7] offset:40
	global_load_dwordx4 v[4:7], v2, s[6:7]
	v_readfirstlane_b32 s10, v8
	v_readfirstlane_b32 s11, v9
	s_mov_b64 s[12:13], exec
	s_waitcnt vmcnt(1)
	v_readfirstlane_b32 s14, v10
	v_readfirstlane_b32 s15, v11
	s_and_b64 s[14:15], s[10:11], s[14:15]
	s_mul_i32 s16, s15, 24
	s_mul_hi_u32 s17, s14, 24
	s_mul_i32 s18, s14, 24
	s_add_i32 s16, s17, s16
	v_mov_b32_e32 v3, s16
	s_waitcnt vmcnt(0)
	v_add_co_u32_e32 v8, vcc, s18, v4
	v_addc_co_u32_e32 v9, vcc, v5, v3, vcc
	s_and_saveexec_b64 s[16:17], s[4:5]
	s_cbranch_execz .LBB4_1555
; %bb.1554:
	v_mov_b32_e32 v10, s12
	v_mov_b32_e32 v11, s13
	;; [unrolled: 1-line block ×4, first 2 shown]
	global_store_dwordx4 v[8:9], v[10:13], off offset:8
.LBB4_1555:
	s_or_b64 exec, exec, s[16:17]
	s_lshl_b64 s[12:13], s[14:15], 12
	v_mov_b32_e32 v3, s13
	v_add_co_u32_e32 v6, vcc, s12, v6
	v_addc_co_u32_e32 v7, vcc, v7, v3, vcc
	s_movk_i32 s12, 0xff1d
	v_and_or_b32 v0, v0, s12, 34
	s_mov_b32 s12, 0
	v_mov_b32_e32 v3, v2
	v_readfirstlane_b32 s16, v6
	v_readfirstlane_b32 s17, v7
	s_mov_b32 s13, s12
	s_mov_b32 s14, s12
	;; [unrolled: 1-line block ×3, first 2 shown]
	s_nop 1
	global_store_dwordx4 v31, v[0:3], s[16:17]
	s_nop 0
	v_mov_b32_e32 v0, s12
	v_mov_b32_e32 v1, s13
	;; [unrolled: 1-line block ×4, first 2 shown]
	global_store_dwordx4 v31, v[0:3], s[16:17] offset:16
	global_store_dwordx4 v31, v[0:3], s[16:17] offset:32
	global_store_dwordx4 v31, v[0:3], s[16:17] offset:48
	s_and_saveexec_b64 s[12:13], s[4:5]
	s_cbranch_execz .LBB4_1563
; %bb.1556:
	v_mov_b32_e32 v6, 0
	global_load_dwordx2 v[12:13], v6, s[6:7] offset:32 glc
	global_load_dwordx2 v[0:1], v6, s[6:7] offset:40
	v_mov_b32_e32 v10, s10
	v_mov_b32_e32 v11, s11
	s_waitcnt vmcnt(0)
	v_readfirstlane_b32 s14, v0
	v_readfirstlane_b32 s15, v1
	s_and_b64 s[14:15], s[14:15], s[10:11]
	s_mul_i32 s15, s15, 24
	s_mul_hi_u32 s16, s14, 24
	s_mul_i32 s14, s14, 24
	s_add_i32 s15, s16, s15
	v_mov_b32_e32 v0, s15
	v_add_co_u32_e32 v4, vcc, s14, v4
	v_addc_co_u32_e32 v5, vcc, v5, v0, vcc
	global_store_dwordx2 v[4:5], v[12:13], off
	s_waitcnt vmcnt(0)
	global_atomic_cmpswap_x2 v[2:3], v6, v[10:13], s[6:7] offset:32 glc
	s_waitcnt vmcnt(0)
	v_cmp_ne_u64_e32 vcc, v[2:3], v[12:13]
	s_and_saveexec_b64 s[14:15], vcc
	s_cbranch_execz .LBB4_1559
; %bb.1557:
	s_mov_b64 s[16:17], 0
.LBB4_1558:                             ; =>This Inner Loop Header: Depth=1
	s_sleep 1
	global_store_dwordx2 v[4:5], v[2:3], off
	v_mov_b32_e32 v0, s10
	v_mov_b32_e32 v1, s11
	s_waitcnt vmcnt(0)
	global_atomic_cmpswap_x2 v[0:1], v6, v[0:3], s[6:7] offset:32 glc
	s_waitcnt vmcnt(0)
	v_cmp_eq_u64_e32 vcc, v[0:1], v[2:3]
	v_mov_b32_e32 v3, v1
	s_or_b64 s[16:17], vcc, s[16:17]
	v_mov_b32_e32 v2, v0
	s_andn2_b64 exec, exec, s[16:17]
	s_cbranch_execnz .LBB4_1558
.LBB4_1559:
	s_or_b64 exec, exec, s[14:15]
	v_mov_b32_e32 v3, 0
	global_load_dwordx2 v[0:1], v3, s[6:7] offset:16
	s_mov_b64 s[14:15], exec
	v_mbcnt_lo_u32_b32 v2, s14, 0
	v_mbcnt_hi_u32_b32 v2, s15, v2
	v_cmp_eq_u32_e32 vcc, 0, v2
	s_and_saveexec_b64 s[16:17], vcc
	s_cbranch_execz .LBB4_1561
; %bb.1560:
	s_bcnt1_i32_b64 s14, s[14:15]
	v_mov_b32_e32 v2, s14
	s_waitcnt vmcnt(0)
	global_atomic_add_x2 v[0:1], v[2:3], off offset:8
.LBB4_1561:
	s_or_b64 exec, exec, s[16:17]
	s_waitcnt vmcnt(0)
	global_load_dwordx2 v[2:3], v[0:1], off offset:16
	s_waitcnt vmcnt(0)
	v_cmp_eq_u64_e32 vcc, 0, v[2:3]
	s_cbranch_vccnz .LBB4_1563
; %bb.1562:
	global_load_dword v0, v[0:1], off offset:24
	v_mov_b32_e32 v1, 0
	s_waitcnt vmcnt(0)
	global_store_dwordx2 v[2:3], v[0:1], off
	v_and_b32_e32 v0, 0xffffff, v0
	v_readfirstlane_b32 m0, v0
	s_sendmsg sendmsg(MSG_INTERRUPT)
.LBB4_1563:
	s_or_b64 exec, exec, s[12:13]
	s_branch .LBB4_1567
.LBB4_1564:                             ;   in Loop: Header=BB4_1567 Depth=1
	s_or_b64 exec, exec, s[12:13]
	v_readfirstlane_b32 s12, v0
	s_cmp_eq_u32 s12, 0
	s_cbranch_scc1 .LBB4_1566
; %bb.1565:                             ;   in Loop: Header=BB4_1567 Depth=1
	s_sleep 1
	s_cbranch_execnz .LBB4_1567
	s_branch .LBB4_1569
.LBB4_1566:
	s_branch .LBB4_1569
.LBB4_1567:                             ; =>This Inner Loop Header: Depth=1
	v_mov_b32_e32 v0, 1
	s_and_saveexec_b64 s[12:13], s[4:5]
	s_cbranch_execz .LBB4_1564
; %bb.1568:                             ;   in Loop: Header=BB4_1567 Depth=1
	global_load_dword v0, v[8:9], off offset:20 glc
	s_waitcnt vmcnt(0)
	buffer_wbinvl1_vol
	v_and_b32_e32 v0, 1, v0
	s_branch .LBB4_1564
.LBB4_1569:
	s_and_saveexec_b64 s[12:13], s[4:5]
	s_cbranch_execz .LBB4_1572
; %bb.1570:
	v_mov_b32_e32 v6, 0
	global_load_dwordx2 v[2:3], v6, s[6:7] offset:40
	global_load_dwordx2 v[7:8], v6, s[6:7] offset:24 glc
	global_load_dwordx2 v[4:5], v6, s[6:7]
	v_mov_b32_e32 v1, s11
	s_mov_b64 s[4:5], 0
	s_waitcnt vmcnt(2)
	v_add_co_u32_e32 v9, vcc, 1, v2
	v_addc_co_u32_e32 v10, vcc, 0, v3, vcc
	v_add_co_u32_e32 v0, vcc, s10, v9
	v_addc_co_u32_e32 v1, vcc, v10, v1, vcc
	v_cmp_eq_u64_e32 vcc, 0, v[0:1]
	v_cndmask_b32_e32 v1, v1, v10, vcc
	v_cndmask_b32_e32 v0, v0, v9, vcc
	v_and_b32_e32 v3, v1, v3
	v_and_b32_e32 v2, v0, v2
	v_mul_lo_u32 v3, v3, 24
	v_mul_hi_u32 v9, v2, 24
	v_mul_lo_u32 v10, v2, 24
	s_waitcnt vmcnt(1)
	v_mov_b32_e32 v2, v7
	v_add_u32_e32 v3, v9, v3
	s_waitcnt vmcnt(0)
	v_add_co_u32_e32 v4, vcc, v4, v10
	v_addc_co_u32_e32 v5, vcc, v5, v3, vcc
	global_store_dwordx2 v[4:5], v[7:8], off
	v_mov_b32_e32 v3, v8
	s_waitcnt vmcnt(0)
	global_atomic_cmpswap_x2 v[2:3], v6, v[0:3], s[6:7] offset:24 glc
	s_waitcnt vmcnt(0)
	v_cmp_ne_u64_e32 vcc, v[2:3], v[7:8]
	s_and_b64 exec, exec, vcc
	s_cbranch_execz .LBB4_1572
.LBB4_1571:                             ; =>This Inner Loop Header: Depth=1
	s_sleep 1
	global_store_dwordx2 v[4:5], v[2:3], off
	s_waitcnt vmcnt(0)
	global_atomic_cmpswap_x2 v[7:8], v6, v[0:3], s[6:7] offset:24 glc
	s_waitcnt vmcnt(0)
	v_cmp_eq_u64_e32 vcc, v[7:8], v[2:3]
	v_mov_b32_e32 v2, v7
	s_or_b64 s[4:5], vcc, s[4:5]
	v_mov_b32_e32 v3, v8
	s_andn2_b64 exec, exec, s[4:5]
	s_cbranch_execnz .LBB4_1571
.LBB4_1572:
	s_or_b64 exec, exec, s[12:13]
.LBB4_1573:
	s_getpc_b64 s[4:5]
	s_add_u32 s4, s4, .str.16@rel32@lo+4
	s_addc_u32 s5, s5, .str.16@rel32@hi+12
	s_waitcnt vmcnt(0)
	v_mov_b32_e32 v0, s4
	v_mov_b32_e32 v1, s5
	s_mov_b64 s[24:25], src_private_base
	s_getpc_b64 s[50:51]
	s_add_u32 s50, s50, _ZNK8migraphx13basic_printerIZNS_4coutEvEUlT_E_ElsEPKc@rel32@lo+4
	s_addc_u32 s51, s51, _ZNK8migraphx13basic_printerIZNS_4coutEvEUlT_E_ElsEPKc@rel32@hi+12
	s_mov_b64 s[42:43], s[8:9]
	s_swappc_b64 s[30:31], s[50:51]
	s_getpc_b64 s[4:5]
	s_add_u32 s4, s4, .str.3@rel32@lo+4
	s_addc_u32 s5, s5, .str.3@rel32@hi+12
	s_mov_b64 s[8:9], s[42:43]
	v_mov_b32_e32 v0, s4
	v_mov_b32_e32 v1, s5
	s_swappc_b64 s[30:31], s[50:51]
	v_lshrrev_b32_e64 v0, 6, s33
	s_mov_b64 s[8:9], s[42:43]
	v_add_u32_e32 v0, 0x48, v0
	v_mov_b32_e32 v1, s25
	s_getpc_b64 s[4:5]
	s_add_u32 s4, s4, _ZN8migraphx4testlsIKNS_13basic_printerIZNS_4coutEvEUlT_E_EEEERS3_S7_RKNS0_10expressionINS0_14lhs_expressionIRNS_5arrayIiLj6EEENS0_3nopEEESC_NS0_5equalEEE@rel32@lo+4
	s_addc_u32 s5, s5, _ZN8migraphx4testlsIKNS_13basic_printerIZNS_4coutEvEUlT_E_EEEERS3_S7_RKNS0_10expressionINS0_14lhs_expressionIRNS_5arrayIiLj6EEENS0_3nopEEESC_NS0_5equalEEE@rel32@hi+12
	s_swappc_b64 s[30:31], s[4:5]
	s_getpc_b64 s[4:5]
	s_add_u32 s4, s4, .str.4@rel32@lo+4
	s_addc_u32 s5, s5, .str.4@rel32@hi+12
	s_mov_b64 s[8:9], s[42:43]
	v_mov_b32_e32 v0, s4
	v_mov_b32_e32 v1, s5
	s_swappc_b64 s[30:31], s[50:51]
	s_mov_b64 s[8:9], s[42:43]
	v_mov_b32_e32 v0, 10
	s_getpc_b64 s[4:5]
	s_add_u32 s4, s4, _ZNK8migraphx13basic_printerIZNS_4coutEvEUlT_E_ElsEc@rel32@lo+4
	s_addc_u32 s5, s5, _ZNK8migraphx13basic_printerIZNS_4coutEvEUlT_E_ElsEc@rel32@hi+12
	s_swappc_b64 s[30:31], s[4:5]
	flat_load_dwordx2 v[0:1], v[42:43]
	s_mov_b64 s[8:9], s[42:43]
	s_mov_b32 s14, s49
	s_mov_b32 s13, s48
	;; [unrolled: 1-line block ×3, first 2 shown]
	s_waitcnt vmcnt(0) lgkmcnt(0)
	flat_load_dword v2, v[0:1]
	s_waitcnt vmcnt(0) lgkmcnt(0)
	v_add_u32_e32 v2, 1, v2
	flat_store_dword v[0:1], v2
.LBB4_1574:
	s_or_b64 exec, exec, s[46:47]
	s_getpc_b64 s[4:5]
	s_add_u32 s4, s4, _ZN8migraphx4test4failEv@rel32@lo+4
	s_addc_u32 s5, s5, _ZN8migraphx4test4failEv@rel32@hi+12
	s_swappc_b64 s[30:31], s[4:5]
	; divergent unreachable
.LBB4_1575:
	s_andn2_saveexec_b64 s[4:5], s[44:45]
	s_or_b64 exec, exec, s[4:5]
	v_readlane_b32 s30, v44, 0
	v_readlane_b32 s31, v44, 1
	;; [unrolled: 1-line block ×3, first 2 shown]
	s_or_saveexec_b64 s[6:7], -1
	buffer_load_dword v44, off, s[0:3], s33 offset:88 ; 4-byte Folded Reload
	s_mov_b64 exec, s[6:7]
	s_addk_i32 s32, 0xe800
	s_mov_b32 s33, s4
	s_waitcnt vmcnt(0)
	s_setpc_b64 s[30:31]
.Lfunc_end4:
	.size	_ZL16merge_duplicatesRN8migraphx4test12test_managerE, .Lfunc_end4-_ZL16merge_duplicatesRN8migraphx4test12test_managerE
                                        ; -- End function
	.section	.AMDGPU.csdata,"",@progbits
; Function info:
; codeLenInByte = 53952
; NumSgprs: 56
; NumVgprs: 56
; ScratchSize: 112
; MemoryBound: 0
	.text
	.p2align	2                               ; -- Begin function _ZL21merge_different_sizesRN8migraphx4test12test_managerE
	.type	_ZL21merge_different_sizesRN8migraphx4test12test_managerE,@function
_ZL21merge_different_sizesRN8migraphx4test12test_managerE: ; @_ZL21merge_different_sizesRN8migraphx4test12test_managerE
; %bb.0:
	s_waitcnt vmcnt(0) expcnt(0) lgkmcnt(0)
	s_mov_b32 s4, s33
	s_mov_b32 s33, s32
	s_or_saveexec_b64 s[6:7], -1
	buffer_store_dword v44, off, s[0:3], s33 offset:88 ; 4-byte Folded Spill
	s_mov_b64 exec, s[6:7]
	v_writelane_b32 v44, s4, 2
	v_writelane_b32 v44, s30, 0
	s_addk_i32 s32, 0x1800
	v_writelane_b32 v44, s31, 1
	v_mov_b32_e32 v42, v0
	v_mov_b32_e32 v0, 1
	buffer_store_dword v0, off, s[0:3], s33
	v_mov_b32_e32 v0, 5
	buffer_store_dword v0, off, s[0:3], s33 offset:4
	v_mov_b32_e32 v0, 2
	buffer_store_dword v0, off, s[0:3], s33 offset:8
	;; [unrolled: 2-line block ×3, first 2 shown]
	v_mov_b32_e32 v0, 4
	v_lshrrev_b32_e64 v3, 6, s33
	v_mov_b32_e32 v43, v1
	buffer_store_dword v0, off, s[0:3], s33 offset:16
	v_mov_b32_e32 v0, 6
	v_mov_b32_e32 v2, 0
	v_add_u32_e32 v3, 24, v3
	s_mov_b64 s[4:5], 0
	v_mov_b32_e32 v4, 0
	buffer_store_dword v0, off, s[0:3], s33 offset:20
	buffer_store_dword v2, off, s[0:3], s33 offset:24
	;; [unrolled: 1-line block ×7, first 2 shown]
                                        ; implicit-def: $sgpr6_sgpr7
                                        ; implicit-def: $sgpr16_sgpr17
                                        ; implicit-def: $sgpr10_sgpr11
	s_branch .LBB5_2
.LBB5_1:                                ;   in Loop: Header=BB5_2 Depth=1
	s_or_b64 exec, exec, s[18:19]
	s_and_b64 s[18:19], exec, s[16:17]
	s_or_b64 s[4:5], s[18:19], s[4:5]
	s_andn2_b64 s[6:7], s[6:7], exec
	s_and_b64 s[18:19], s[10:11], exec
	s_or_b64 s[6:7], s[6:7], s[18:19]
	s_andn2_b64 exec, exec, s[4:5]
	s_cbranch_execz .LBB5_4
.LBB5_2:                                ; =>This Inner Loop Header: Depth=1
	v_mov_b32_e32 v1, v4
	v_mov_b32_e32 v0, v3
	v_cmp_ne_u32_e32 vcc, 16, v2
	s_or_b64 s[10:11], s[10:11], exec
	s_or_b64 s[16:17], s[16:17], exec
                                        ; implicit-def: $vgpr4
                                        ; implicit-def: $vgpr3
	s_and_saveexec_b64 s[18:19], vcc
	s_cbranch_execz .LBB5_1
; %bb.3:                                ;   in Loop: Header=BB5_2 Depth=1
	v_lshrrev_b32_e64 v5, 6, s33
	v_lshrrev_b32_e64 v4, 6, s33
	v_add_u32_e32 v5, 8, v5
	v_add_u32_e32 v3, v4, v1
	;; [unrolled: 1-line block ×3, first 2 shown]
	buffer_load_dword v5, v4, s[0:3], 0 offen
	buffer_load_dword v6, v3, s[0:3], 0 offen
	s_andn2_b64 s[16:17], s[16:17], exec
	v_add_u32_e32 v3, 4, v0
	s_andn2_b64 s[10:11], s[10:11], exec
	s_waitcnt vmcnt(0)
	v_cmp_ge_i32_e32 vcc, v5, v6
	v_cndmask_b32_e64 v4, 0, 1, vcc
	v_cmp_lt_i32_e32 vcc, v5, v6
	v_lshl_add_u32 v4, v4, 2, v1
	v_min_i32_e32 v7, v5, v6
	v_cndmask_b32_e64 v5, 0, 1, vcc
	v_cmp_eq_u32_e32 vcc, 8, v4
	s_and_b64 s[20:21], vcc, exec
	v_lshl_add_u32 v2, v5, 2, v2
	s_or_b64 s[16:17], s[16:17], s[20:21]
	buffer_store_dword v7, v0, s[0:3], 0 offen
	s_branch .LBB5_1
.LBB5_4:
	s_or_b64 exec, exec, s[4:5]
	s_xor_b64 s[4:5], s[6:7], -1
	s_and_saveexec_b64 s[6:7], s[4:5]
	s_xor_b64 s[4:5], exec, s[6:7]
	s_cbranch_execz .LBB5_9
; %bb.5:
	v_cmp_ne_u32_e32 vcc, 16, v2
	s_and_saveexec_b64 s[6:7], vcc
	s_cbranch_execz .LBB5_8
; %bb.6:
	v_lshrrev_b32_e64 v5, 6, s33
	v_add_u32_e32 v5, 8, v5
	v_add_u32_e32 v4, v5, v2
	v_sub_u32_e32 v2, 16, v2
	s_mov_b32 s15, 0
	s_mov_b64 s[10:11], 0
.LBB5_7:                                ; =>This Inner Loop Header: Depth=1
	v_add_u32_e32 v5, s15, v4
	buffer_load_dword v5, v5, s[0:3], 0 offen
	v_add_u32_e32 v6, s15, v3
	s_add_i32 s15, s15, 4
	v_cmp_eq_u32_e32 vcc, s15, v2
	s_or_b64 s[10:11], vcc, s[10:11]
	s_waitcnt vmcnt(0)
	buffer_store_dword v5, v6, s[0:3], 0 offen
	s_andn2_b64 exec, exec, s[10:11]
	s_cbranch_execnz .LBB5_7
.LBB5_8:
	s_or_b64 exec, exec, s[6:7]
.LBB5_9:
	s_andn2_saveexec_b64 s[4:5], s[4:5]
	s_cbranch_execz .LBB5_13
; %bb.10:
	v_lshrrev_b32_e64 v3, 6, s33
	v_add_u32_e32 v2, v3, v1
	v_sub_u32_e32 v1, 8, v1
	s_mov_b32 s10, 0
	s_mov_b64 s[6:7], 0
.LBB5_11:                               ; =>This Inner Loop Header: Depth=1
	v_add_u32_e32 v3, s10, v2
	buffer_load_dword v3, v3, s[0:3], 0 offen
	v_add_u32_e32 v4, s10, v0
	s_add_i32 s10, s10, 4
	v_cmp_eq_u32_e32 vcc, s10, v1
	s_or_b64 s[6:7], vcc, s[6:7]
	s_waitcnt vmcnt(0)
	buffer_store_dword v3, v4, s[0:3], 0 offen
	s_andn2_b64 exec, exec, s[6:7]
	s_cbranch_execnz .LBB5_11
; %bb.12:
	s_or_b64 exec, exec, s[6:7]
.LBB5_13:
	s_or_b64 exec, exec, s[4:5]
	buffer_load_dword v0, off, s[0:3], s33 offset:40
	buffer_load_dword v1, off, s[0:3], s33 offset:44
	;; [unrolled: 1-line block ×6, first 2 shown]
	s_mov_b64 s[4:5], src_private_base
	v_mov_b32_e32 v6, 1
	v_mov_b32_e32 v7, 2
	;; [unrolled: 1-line block ×6, first 2 shown]
	buffer_store_dword v6, off, s[0:3], s33 offset:48
	buffer_store_dword v7, off, s[0:3], s33 offset:52
	;; [unrolled: 1-line block ×6, first 2 shown]
	v_mov_b32_e32 v6, s5
	v_lshrrev_b32_e64 v12, 6, s33
	v_add_u32_e32 v12, 24, v12
	v_lshrrev_b32_e64 v13, 6, s33
	v_add_u32_e32 v13, 48, v13
	buffer_store_dword v12, off, s[0:3], s33 offset:72
	buffer_store_dword v13, off, s[0:3], s33 offset:80
	;; [unrolled: 1-line block ×4, first 2 shown]
	s_waitcnt vmcnt(15)
	v_cmp_ne_u32_e32 vcc, 5, v0
	s_waitcnt vmcnt(14)
	v_cmp_ne_u32_e64 s[4:5], 6, v1
	s_waitcnt vmcnt(13)
	v_cmp_ne_u32_e64 s[6:7], 3, v2
	v_cndmask_b32_e64 v0, 0, 1, s[6:7]
	s_waitcnt vmcnt(12)
	v_cmp_ne_u32_e64 s[6:7], 4, v3
	v_cndmask_b32_e64 v1, 0, 1, s[6:7]
	;; [unrolled: 3-line block ×4, first 2 shown]
	v_lshlrev_b16_e32 v0, 2, v0
	v_lshlrev_b16_e32 v1, 3, v1
	;; [unrolled: 1-line block ×3, first 2 shown]
	v_or_b32_e32 v0, v1, v0
	v_or_b32_e32 v1, v3, v2
	v_and_b32_e32 v1, 3, v1
	v_or_b32_e32 v0, v1, v0
	v_and_b32_e32 v0, 15, v0
	v_cmp_ne_u16_e64 s[6:7], 0, v0
	s_or_b64 s[6:7], s[6:7], vcc
	s_or_b64 s[4:5], s[6:7], s[4:5]
	s_and_saveexec_b64 s[6:7], s[4:5]
	s_xor_b64 s[44:45], exec, s[6:7]
	s_cbranch_execz .LBB5_1575
; %bb.14:
	v_and_b32_e32 v0, 0x3ff, v31
	v_cmp_eq_u32_e32 vcc, 0, v0
	s_and_saveexec_b64 s[46:47], vcc
	s_cbranch_execz .LBB5_1574
; %bb.15:
	s_load_dwordx2 s[6:7], s[8:9], 0x50
	v_mbcnt_lo_u32_b32 v0, -1, 0
	v_mbcnt_hi_u32_b32 v32, -1, v0
	v_readfirstlane_b32 s4, v32
	v_mov_b32_e32 v5, 0
	v_mov_b32_e32 v6, 0
	v_cmp_eq_u32_e64 s[4:5], s4, v32
	s_and_saveexec_b64 s[10:11], s[4:5]
	s_cbranch_execz .LBB5_21
; %bb.16:
	v_mov_b32_e32 v0, 0
	s_waitcnt lgkmcnt(0)
	global_load_dwordx2 v[3:4], v0, s[6:7] offset:24 glc
	s_waitcnt vmcnt(0)
	buffer_wbinvl1_vol
	global_load_dwordx2 v[1:2], v0, s[6:7] offset:40
	global_load_dwordx2 v[5:6], v0, s[6:7]
	s_waitcnt vmcnt(1)
	v_and_b32_e32 v1, v1, v3
	v_and_b32_e32 v2, v2, v4
	v_mul_lo_u32 v2, v2, 24
	v_mul_hi_u32 v7, v1, 24
	v_mul_lo_u32 v1, v1, 24
	v_add_u32_e32 v2, v7, v2
	s_waitcnt vmcnt(0)
	v_add_co_u32_e32 v1, vcc, v5, v1
	v_addc_co_u32_e32 v2, vcc, v6, v2, vcc
	global_load_dwordx2 v[1:2], v[1:2], off glc
	s_waitcnt vmcnt(0)
	global_atomic_cmpswap_x2 v[5:6], v0, v[1:4], s[6:7] offset:24 glc
	s_waitcnt vmcnt(0)
	buffer_wbinvl1_vol
	v_cmp_ne_u64_e32 vcc, v[5:6], v[3:4]
	s_and_saveexec_b64 s[16:17], vcc
	s_cbranch_execz .LBB5_20
; %bb.17:
	s_mov_b64 s[18:19], 0
.LBB5_18:                               ; =>This Inner Loop Header: Depth=1
	s_sleep 1
	global_load_dwordx2 v[1:2], v0, s[6:7] offset:40
	global_load_dwordx2 v[7:8], v0, s[6:7]
	v_mov_b32_e32 v3, v5
	v_mov_b32_e32 v4, v6
	s_waitcnt vmcnt(1)
	v_and_b32_e32 v1, v1, v3
	s_waitcnt vmcnt(0)
	v_mad_u64_u32 v[5:6], s[20:21], v1, 24, v[7:8]
	v_and_b32_e32 v2, v2, v4
	v_mov_b32_e32 v1, v6
	v_mad_u64_u32 v[1:2], s[20:21], v2, 24, v[1:2]
	v_mov_b32_e32 v6, v1
	global_load_dwordx2 v[1:2], v[5:6], off glc
	s_waitcnt vmcnt(0)
	global_atomic_cmpswap_x2 v[5:6], v0, v[1:4], s[6:7] offset:24 glc
	s_waitcnt vmcnt(0)
	buffer_wbinvl1_vol
	v_cmp_eq_u64_e32 vcc, v[5:6], v[3:4]
	s_or_b64 s[18:19], vcc, s[18:19]
	s_andn2_b64 exec, exec, s[18:19]
	s_cbranch_execnz .LBB5_18
; %bb.19:
	s_or_b64 exec, exec, s[18:19]
.LBB5_20:
	s_or_b64 exec, exec, s[16:17]
.LBB5_21:
	s_or_b64 exec, exec, s[10:11]
	v_mov_b32_e32 v4, 0
	s_waitcnt lgkmcnt(0)
	global_load_dwordx2 v[7:8], v4, s[6:7] offset:40
	global_load_dwordx4 v[0:3], v4, s[6:7]
	v_readfirstlane_b32 s10, v5
	v_readfirstlane_b32 s11, v6
	s_mov_b64 s[16:17], exec
	s_waitcnt vmcnt(1)
	v_readfirstlane_b32 s18, v7
	v_readfirstlane_b32 s19, v8
	s_and_b64 s[18:19], s[10:11], s[18:19]
	s_mul_i32 s15, s19, 24
	s_mul_hi_u32 s20, s18, 24
	s_mul_i32 s21, s18, 24
	s_add_i32 s15, s20, s15
	v_mov_b32_e32 v5, s15
	s_waitcnt vmcnt(0)
	v_add_co_u32_e32 v7, vcc, s21, v0
	v_addc_co_u32_e32 v8, vcc, v1, v5, vcc
	s_and_saveexec_b64 s[20:21], s[4:5]
	s_cbranch_execz .LBB5_23
; %bb.22:
	v_mov_b32_e32 v9, s16
	v_mov_b32_e32 v10, s17
	;; [unrolled: 1-line block ×4, first 2 shown]
	global_store_dwordx4 v[7:8], v[9:12], off offset:8
.LBB5_23:
	s_or_b64 exec, exec, s[20:21]
	s_lshl_b64 s[16:17], s[18:19], 12
	v_mov_b32_e32 v5, s17
	v_add_co_u32_e32 v2, vcc, s16, v2
	v_addc_co_u32_e32 v11, vcc, v3, v5, vcc
	s_mov_b32 s16, 0
	v_lshlrev_b32_e32 v31, 6, v32
	v_mov_b32_e32 v3, 33
	v_mov_b32_e32 v5, v4
	;; [unrolled: 1-line block ×3, first 2 shown]
	v_readfirstlane_b32 s20, v2
	v_readfirstlane_b32 s21, v11
	v_add_co_u32_e32 v9, vcc, v2, v31
	s_mov_b32 s17, s16
	s_mov_b32 s18, s16
	;; [unrolled: 1-line block ×3, first 2 shown]
	s_nop 0
	global_store_dwordx4 v31, v[3:6], s[20:21]
	v_mov_b32_e32 v2, s16
	v_addc_co_u32_e32 v10, vcc, 0, v11, vcc
	v_mov_b32_e32 v3, s17
	v_mov_b32_e32 v4, s18
	v_mov_b32_e32 v5, s19
	global_store_dwordx4 v31, v[2:5], s[20:21] offset:16
	global_store_dwordx4 v31, v[2:5], s[20:21] offset:32
	;; [unrolled: 1-line block ×3, first 2 shown]
	s_and_saveexec_b64 s[16:17], s[4:5]
	s_cbranch_execz .LBB5_31
; %bb.24:
	v_mov_b32_e32 v6, 0
	global_load_dwordx2 v[13:14], v6, s[6:7] offset:32 glc
	global_load_dwordx2 v[2:3], v6, s[6:7] offset:40
	v_mov_b32_e32 v11, s10
	v_mov_b32_e32 v12, s11
	s_waitcnt vmcnt(0)
	v_and_b32_e32 v2, s10, v2
	v_and_b32_e32 v3, s11, v3
	v_mul_lo_u32 v3, v3, 24
	v_mul_hi_u32 v4, v2, 24
	v_mul_lo_u32 v2, v2, 24
	v_add_u32_e32 v3, v4, v3
	v_add_co_u32_e32 v4, vcc, v0, v2
	v_addc_co_u32_e32 v5, vcc, v1, v3, vcc
	global_store_dwordx2 v[4:5], v[13:14], off
	s_waitcnt vmcnt(0)
	global_atomic_cmpswap_x2 v[2:3], v6, v[11:14], s[6:7] offset:32 glc
	s_waitcnt vmcnt(0)
	v_cmp_ne_u64_e32 vcc, v[2:3], v[13:14]
	s_and_saveexec_b64 s[18:19], vcc
	s_cbranch_execz .LBB5_27
; %bb.25:
	s_mov_b64 s[20:21], 0
.LBB5_26:                               ; =>This Inner Loop Header: Depth=1
	s_sleep 1
	global_store_dwordx2 v[4:5], v[2:3], off
	v_mov_b32_e32 v0, s10
	v_mov_b32_e32 v1, s11
	s_waitcnt vmcnt(0)
	global_atomic_cmpswap_x2 v[0:1], v6, v[0:3], s[6:7] offset:32 glc
	s_waitcnt vmcnt(0)
	v_cmp_eq_u64_e32 vcc, v[0:1], v[2:3]
	v_mov_b32_e32 v3, v1
	s_or_b64 s[20:21], vcc, s[20:21]
	v_mov_b32_e32 v2, v0
	s_andn2_b64 exec, exec, s[20:21]
	s_cbranch_execnz .LBB5_26
.LBB5_27:
	s_or_b64 exec, exec, s[18:19]
	v_mov_b32_e32 v3, 0
	global_load_dwordx2 v[0:1], v3, s[6:7] offset:16
	s_mov_b64 s[18:19], exec
	v_mbcnt_lo_u32_b32 v2, s18, 0
	v_mbcnt_hi_u32_b32 v2, s19, v2
	v_cmp_eq_u32_e32 vcc, 0, v2
	s_and_saveexec_b64 s[20:21], vcc
	s_cbranch_execz .LBB5_29
; %bb.28:
	s_bcnt1_i32_b64 s15, s[18:19]
	v_mov_b32_e32 v2, s15
	s_waitcnt vmcnt(0)
	global_atomic_add_x2 v[0:1], v[2:3], off offset:8
.LBB5_29:
	s_or_b64 exec, exec, s[20:21]
	s_waitcnt vmcnt(0)
	global_load_dwordx2 v[2:3], v[0:1], off offset:16
	s_waitcnt vmcnt(0)
	v_cmp_eq_u64_e32 vcc, 0, v[2:3]
	s_cbranch_vccnz .LBB5_31
; %bb.30:
	global_load_dword v0, v[0:1], off offset:24
	v_mov_b32_e32 v1, 0
	s_waitcnt vmcnt(0)
	global_store_dwordx2 v[2:3], v[0:1], off
	v_and_b32_e32 v0, 0xffffff, v0
	v_readfirstlane_b32 m0, v0
	s_sendmsg sendmsg(MSG_INTERRUPT)
.LBB5_31:
	s_or_b64 exec, exec, s[16:17]
	s_branch .LBB5_35
.LBB5_32:                               ;   in Loop: Header=BB5_35 Depth=1
	s_or_b64 exec, exec, s[16:17]
	v_readfirstlane_b32 s15, v0
	s_cmp_eq_u32 s15, 0
	s_cbranch_scc1 .LBB5_34
; %bb.33:                               ;   in Loop: Header=BB5_35 Depth=1
	s_sleep 1
	s_cbranch_execnz .LBB5_35
	s_branch .LBB5_37
.LBB5_34:
	s_branch .LBB5_37
.LBB5_35:                               ; =>This Inner Loop Header: Depth=1
	v_mov_b32_e32 v0, 1
	s_and_saveexec_b64 s[16:17], s[4:5]
	s_cbranch_execz .LBB5_32
; %bb.36:                               ;   in Loop: Header=BB5_35 Depth=1
	global_load_dword v0, v[7:8], off offset:20 glc
	s_waitcnt vmcnt(0)
	buffer_wbinvl1_vol
	v_and_b32_e32 v0, 1, v0
	s_branch .LBB5_32
.LBB5_37:
	global_load_dwordx2 v[4:5], v[9:10], off
	s_and_saveexec_b64 s[16:17], s[4:5]
	s_cbranch_execz .LBB5_40
; %bb.38:
	v_mov_b32_e32 v8, 0
	global_load_dwordx2 v[2:3], v8, s[6:7] offset:40
	global_load_dwordx2 v[9:10], v8, s[6:7] offset:24 glc
	global_load_dwordx2 v[6:7], v8, s[6:7]
	v_mov_b32_e32 v1, s11
	s_mov_b64 s[4:5], 0
	s_waitcnt vmcnt(2)
	v_add_co_u32_e32 v11, vcc, 1, v2
	v_addc_co_u32_e32 v12, vcc, 0, v3, vcc
	v_add_co_u32_e32 v0, vcc, s10, v11
	v_addc_co_u32_e32 v1, vcc, v12, v1, vcc
	v_cmp_eq_u64_e32 vcc, 0, v[0:1]
	v_cndmask_b32_e32 v1, v1, v12, vcc
	v_cndmask_b32_e32 v0, v0, v11, vcc
	v_and_b32_e32 v3, v1, v3
	v_and_b32_e32 v2, v0, v2
	v_mul_lo_u32 v3, v3, 24
	v_mul_hi_u32 v11, v2, 24
	v_mul_lo_u32 v12, v2, 24
	s_waitcnt vmcnt(1)
	v_mov_b32_e32 v2, v9
	v_add_u32_e32 v3, v11, v3
	s_waitcnt vmcnt(0)
	v_add_co_u32_e32 v6, vcc, v6, v12
	v_addc_co_u32_e32 v7, vcc, v7, v3, vcc
	global_store_dwordx2 v[6:7], v[9:10], off
	v_mov_b32_e32 v3, v10
	s_waitcnt vmcnt(0)
	global_atomic_cmpswap_x2 v[2:3], v8, v[0:3], s[6:7] offset:24 glc
	s_waitcnt vmcnt(0)
	v_cmp_ne_u64_e32 vcc, v[2:3], v[9:10]
	s_and_b64 exec, exec, vcc
	s_cbranch_execz .LBB5_40
.LBB5_39:                               ; =>This Inner Loop Header: Depth=1
	s_sleep 1
	global_store_dwordx2 v[6:7], v[2:3], off
	s_waitcnt vmcnt(0)
	global_atomic_cmpswap_x2 v[9:10], v8, v[0:3], s[6:7] offset:24 glc
	s_waitcnt vmcnt(0)
	v_cmp_eq_u64_e32 vcc, v[9:10], v[2:3]
	v_mov_b32_e32 v2, v9
	s_or_b64 s[4:5], vcc, s[4:5]
	v_mov_b32_e32 v3, v10
	s_andn2_b64 exec, exec, s[4:5]
	s_cbranch_execnz .LBB5_39
.LBB5_40:
	s_or_b64 exec, exec, s[16:17]
	s_getpc_b64 s[16:17]
	s_add_u32 s16, s16, .str.5@rel32@lo+4
	s_addc_u32 s17, s17, .str.5@rel32@hi+12
	s_cmp_lg_u64 s[16:17], 0
	s_cselect_b64 s[10:11], -1, 0
	s_and_b64 vcc, exec, s[10:11]
	s_cbranch_vccz .LBB5_125
; %bb.41:
	s_waitcnt vmcnt(0)
	v_and_b32_e32 v29, 2, v4
	v_mov_b32_e32 v26, 0
	v_and_b32_e32 v0, -3, v4
	v_mov_b32_e32 v1, v5
	s_mov_b64 s[18:19], 3
	v_mov_b32_e32 v8, 2
	v_mov_b32_e32 v9, 1
	s_branch .LBB5_43
.LBB5_42:                               ;   in Loop: Header=BB5_43 Depth=1
	s_or_b64 exec, exec, s[24:25]
	s_sub_u32 s18, s18, s20
	s_subb_u32 s19, s19, s21
	s_add_u32 s16, s16, s20
	s_addc_u32 s17, s17, s21
	s_cmp_lg_u64 s[18:19], 0
	s_cbranch_scc0 .LBB5_124
.LBB5_43:                               ; =>This Loop Header: Depth=1
                                        ;     Child Loop BB5_46 Depth 2
                                        ;     Child Loop BB5_53 Depth 2
	;; [unrolled: 1-line block ×11, first 2 shown]
	v_cmp_lt_u64_e64 s[4:5], s[18:19], 56
	v_cmp_gt_u64_e64 s[22:23], s[18:19], 7
	s_and_b64 s[4:5], s[4:5], exec
	s_cselect_b32 s21, s19, 0
	s_cselect_b32 s20, s18, 56
	s_and_b64 vcc, exec, s[22:23]
	s_cbranch_vccnz .LBB5_48
; %bb.44:                               ;   in Loop: Header=BB5_43 Depth=1
	s_waitcnt vmcnt(0)
	v_mov_b32_e32 v2, 0
	s_cmp_eq_u64 s[18:19], 0
	v_mov_b32_e32 v3, 0
	s_mov_b64 s[4:5], 0
	s_cbranch_scc1 .LBB5_47
; %bb.45:                               ;   in Loop: Header=BB5_43 Depth=1
	v_mov_b32_e32 v2, 0
	s_lshl_b64 s[22:23], s[20:21], 3
	s_mov_b64 s[24:25], 0
	v_mov_b32_e32 v3, 0
	s_mov_b64 s[26:27], s[16:17]
.LBB5_46:                               ;   Parent Loop BB5_43 Depth=1
                                        ; =>  This Inner Loop Header: Depth=2
	global_load_ubyte v6, v26, s[26:27]
	s_waitcnt vmcnt(0)
	v_and_b32_e32 v25, 0xffff, v6
	v_lshlrev_b64 v[6:7], s24, v[25:26]
	s_add_u32 s24, s24, 8
	s_addc_u32 s25, s25, 0
	s_add_u32 s26, s26, 1
	s_addc_u32 s27, s27, 0
	v_or_b32_e32 v2, v6, v2
	s_cmp_lg_u32 s22, s24
	v_or_b32_e32 v3, v7, v3
	s_cbranch_scc1 .LBB5_46
.LBB5_47:                               ;   in Loop: Header=BB5_43 Depth=1
	s_mov_b32 s15, 0
	s_andn2_b64 vcc, exec, s[4:5]
	s_mov_b64 s[4:5], s[16:17]
	s_cbranch_vccz .LBB5_49
	s_branch .LBB5_50
.LBB5_48:                               ;   in Loop: Header=BB5_43 Depth=1
                                        ; implicit-def: $vgpr2_vgpr3
                                        ; implicit-def: $sgpr15
	s_mov_b64 s[4:5], s[16:17]
.LBB5_49:                               ;   in Loop: Header=BB5_43 Depth=1
	global_load_dwordx2 v[2:3], v26, s[16:17]
	s_add_i32 s15, s20, -8
	s_add_u32 s4, s16, 8
	s_addc_u32 s5, s17, 0
.LBB5_50:                               ;   in Loop: Header=BB5_43 Depth=1
	s_cmp_gt_u32 s15, 7
	s_cbranch_scc1 .LBB5_54
; %bb.51:                               ;   in Loop: Header=BB5_43 Depth=1
	s_cmp_eq_u32 s15, 0
	s_cbranch_scc1 .LBB5_55
; %bb.52:                               ;   in Loop: Header=BB5_43 Depth=1
	v_mov_b32_e32 v10, 0
	s_mov_b64 s[22:23], 0
	v_mov_b32_e32 v11, 0
	s_mov_b64 s[24:25], 0
.LBB5_53:                               ;   Parent Loop BB5_43 Depth=1
                                        ; =>  This Inner Loop Header: Depth=2
	s_add_u32 s26, s4, s24
	s_addc_u32 s27, s5, s25
	global_load_ubyte v6, v26, s[26:27]
	s_add_u32 s24, s24, 1
	s_addc_u32 s25, s25, 0
	s_waitcnt vmcnt(0)
	v_and_b32_e32 v25, 0xffff, v6
	v_lshlrev_b64 v[6:7], s22, v[25:26]
	s_add_u32 s22, s22, 8
	s_addc_u32 s23, s23, 0
	v_or_b32_e32 v10, v6, v10
	s_cmp_lg_u32 s15, s24
	v_or_b32_e32 v11, v7, v11
	s_cbranch_scc1 .LBB5_53
	s_branch .LBB5_56
.LBB5_54:                               ;   in Loop: Header=BB5_43 Depth=1
                                        ; implicit-def: $vgpr10_vgpr11
                                        ; implicit-def: $sgpr26
	s_branch .LBB5_57
.LBB5_55:                               ;   in Loop: Header=BB5_43 Depth=1
	v_mov_b32_e32 v10, 0
	v_mov_b32_e32 v11, 0
.LBB5_56:                               ;   in Loop: Header=BB5_43 Depth=1
	s_mov_b32 s26, 0
	s_cbranch_execnz .LBB5_58
.LBB5_57:                               ;   in Loop: Header=BB5_43 Depth=1
	global_load_dwordx2 v[10:11], v26, s[4:5]
	s_add_i32 s26, s15, -8
	s_add_u32 s4, s4, 8
	s_addc_u32 s5, s5, 0
.LBB5_58:                               ;   in Loop: Header=BB5_43 Depth=1
	s_cmp_gt_u32 s26, 7
	s_cbranch_scc1 .LBB5_62
; %bb.59:                               ;   in Loop: Header=BB5_43 Depth=1
	s_cmp_eq_u32 s26, 0
	s_cbranch_scc1 .LBB5_63
; %bb.60:                               ;   in Loop: Header=BB5_43 Depth=1
	v_mov_b32_e32 v12, 0
	s_mov_b64 s[22:23], 0
	v_mov_b32_e32 v13, 0
	s_mov_b64 s[24:25], 0
.LBB5_61:                               ;   Parent Loop BB5_43 Depth=1
                                        ; =>  This Inner Loop Header: Depth=2
	s_add_u32 s28, s4, s24
	s_addc_u32 s29, s5, s25
	global_load_ubyte v6, v26, s[28:29]
	s_add_u32 s24, s24, 1
	s_addc_u32 s25, s25, 0
	s_waitcnt vmcnt(0)
	v_and_b32_e32 v25, 0xffff, v6
	v_lshlrev_b64 v[6:7], s22, v[25:26]
	s_add_u32 s22, s22, 8
	s_addc_u32 s23, s23, 0
	v_or_b32_e32 v12, v6, v12
	s_cmp_lg_u32 s26, s24
	v_or_b32_e32 v13, v7, v13
	s_cbranch_scc1 .LBB5_61
	s_branch .LBB5_64
.LBB5_62:                               ;   in Loop: Header=BB5_43 Depth=1
                                        ; implicit-def: $sgpr15
	s_branch .LBB5_65
.LBB5_63:                               ;   in Loop: Header=BB5_43 Depth=1
	v_mov_b32_e32 v12, 0
	v_mov_b32_e32 v13, 0
.LBB5_64:                               ;   in Loop: Header=BB5_43 Depth=1
	s_mov_b32 s15, 0
	s_cbranch_execnz .LBB5_66
.LBB5_65:                               ;   in Loop: Header=BB5_43 Depth=1
	global_load_dwordx2 v[12:13], v26, s[4:5]
	s_add_i32 s15, s26, -8
	s_add_u32 s4, s4, 8
	s_addc_u32 s5, s5, 0
.LBB5_66:                               ;   in Loop: Header=BB5_43 Depth=1
	s_cmp_gt_u32 s15, 7
	s_cbranch_scc1 .LBB5_70
; %bb.67:                               ;   in Loop: Header=BB5_43 Depth=1
	s_cmp_eq_u32 s15, 0
	s_cbranch_scc1 .LBB5_71
; %bb.68:                               ;   in Loop: Header=BB5_43 Depth=1
	v_mov_b32_e32 v14, 0
	s_mov_b64 s[22:23], 0
	v_mov_b32_e32 v15, 0
	s_mov_b64 s[24:25], 0
.LBB5_69:                               ;   Parent Loop BB5_43 Depth=1
                                        ; =>  This Inner Loop Header: Depth=2
	s_add_u32 s26, s4, s24
	s_addc_u32 s27, s5, s25
	global_load_ubyte v6, v26, s[26:27]
	s_add_u32 s24, s24, 1
	s_addc_u32 s25, s25, 0
	s_waitcnt vmcnt(0)
	v_and_b32_e32 v25, 0xffff, v6
	v_lshlrev_b64 v[6:7], s22, v[25:26]
	s_add_u32 s22, s22, 8
	s_addc_u32 s23, s23, 0
	v_or_b32_e32 v14, v6, v14
	s_cmp_lg_u32 s15, s24
	v_or_b32_e32 v15, v7, v15
	s_cbranch_scc1 .LBB5_69
	s_branch .LBB5_72
.LBB5_70:                               ;   in Loop: Header=BB5_43 Depth=1
                                        ; implicit-def: $vgpr14_vgpr15
                                        ; implicit-def: $sgpr26
	s_branch .LBB5_73
.LBB5_71:                               ;   in Loop: Header=BB5_43 Depth=1
	v_mov_b32_e32 v14, 0
	v_mov_b32_e32 v15, 0
.LBB5_72:                               ;   in Loop: Header=BB5_43 Depth=1
	s_mov_b32 s26, 0
	s_cbranch_execnz .LBB5_74
.LBB5_73:                               ;   in Loop: Header=BB5_43 Depth=1
	global_load_dwordx2 v[14:15], v26, s[4:5]
	s_add_i32 s26, s15, -8
	s_add_u32 s4, s4, 8
	s_addc_u32 s5, s5, 0
.LBB5_74:                               ;   in Loop: Header=BB5_43 Depth=1
	s_cmp_gt_u32 s26, 7
	s_cbranch_scc1 .LBB5_78
; %bb.75:                               ;   in Loop: Header=BB5_43 Depth=1
	s_cmp_eq_u32 s26, 0
	s_cbranch_scc1 .LBB5_79
; %bb.76:                               ;   in Loop: Header=BB5_43 Depth=1
	v_mov_b32_e32 v16, 0
	s_mov_b64 s[22:23], 0
	v_mov_b32_e32 v17, 0
	s_mov_b64 s[24:25], 0
.LBB5_77:                               ;   Parent Loop BB5_43 Depth=1
                                        ; =>  This Inner Loop Header: Depth=2
	s_add_u32 s28, s4, s24
	s_addc_u32 s29, s5, s25
	global_load_ubyte v6, v26, s[28:29]
	s_add_u32 s24, s24, 1
	s_addc_u32 s25, s25, 0
	s_waitcnt vmcnt(0)
	v_and_b32_e32 v25, 0xffff, v6
	v_lshlrev_b64 v[6:7], s22, v[25:26]
	s_add_u32 s22, s22, 8
	s_addc_u32 s23, s23, 0
	v_or_b32_e32 v16, v6, v16
	s_cmp_lg_u32 s26, s24
	v_or_b32_e32 v17, v7, v17
	s_cbranch_scc1 .LBB5_77
	s_branch .LBB5_80
.LBB5_78:                               ;   in Loop: Header=BB5_43 Depth=1
                                        ; implicit-def: $sgpr15
	s_branch .LBB5_81
.LBB5_79:                               ;   in Loop: Header=BB5_43 Depth=1
	v_mov_b32_e32 v16, 0
	v_mov_b32_e32 v17, 0
.LBB5_80:                               ;   in Loop: Header=BB5_43 Depth=1
	s_mov_b32 s15, 0
	s_cbranch_execnz .LBB5_82
.LBB5_81:                               ;   in Loop: Header=BB5_43 Depth=1
	global_load_dwordx2 v[16:17], v26, s[4:5]
	s_add_i32 s15, s26, -8
	s_add_u32 s4, s4, 8
	s_addc_u32 s5, s5, 0
.LBB5_82:                               ;   in Loop: Header=BB5_43 Depth=1
	s_cmp_gt_u32 s15, 7
	s_cbranch_scc1 .LBB5_86
; %bb.83:                               ;   in Loop: Header=BB5_43 Depth=1
	s_cmp_eq_u32 s15, 0
	s_cbranch_scc1 .LBB5_87
; %bb.84:                               ;   in Loop: Header=BB5_43 Depth=1
	v_mov_b32_e32 v18, 0
	s_mov_b64 s[22:23], 0
	v_mov_b32_e32 v19, 0
	s_mov_b64 s[24:25], 0
.LBB5_85:                               ;   Parent Loop BB5_43 Depth=1
                                        ; =>  This Inner Loop Header: Depth=2
	s_add_u32 s26, s4, s24
	s_addc_u32 s27, s5, s25
	global_load_ubyte v6, v26, s[26:27]
	s_add_u32 s24, s24, 1
	s_addc_u32 s25, s25, 0
	s_waitcnt vmcnt(0)
	v_and_b32_e32 v25, 0xffff, v6
	v_lshlrev_b64 v[6:7], s22, v[25:26]
	s_add_u32 s22, s22, 8
	s_addc_u32 s23, s23, 0
	v_or_b32_e32 v18, v6, v18
	s_cmp_lg_u32 s15, s24
	v_or_b32_e32 v19, v7, v19
	s_cbranch_scc1 .LBB5_85
	s_branch .LBB5_88
.LBB5_86:                               ;   in Loop: Header=BB5_43 Depth=1
                                        ; implicit-def: $vgpr18_vgpr19
                                        ; implicit-def: $sgpr26
	s_branch .LBB5_89
.LBB5_87:                               ;   in Loop: Header=BB5_43 Depth=1
	v_mov_b32_e32 v18, 0
	v_mov_b32_e32 v19, 0
.LBB5_88:                               ;   in Loop: Header=BB5_43 Depth=1
	s_mov_b32 s26, 0
	s_cbranch_execnz .LBB5_90
.LBB5_89:                               ;   in Loop: Header=BB5_43 Depth=1
	global_load_dwordx2 v[18:19], v26, s[4:5]
	s_add_i32 s26, s15, -8
	s_add_u32 s4, s4, 8
	s_addc_u32 s5, s5, 0
.LBB5_90:                               ;   in Loop: Header=BB5_43 Depth=1
	s_cmp_gt_u32 s26, 7
	s_cbranch_scc1 .LBB5_94
; %bb.91:                               ;   in Loop: Header=BB5_43 Depth=1
	s_cmp_eq_u32 s26, 0
	s_cbranch_scc1 .LBB5_95
; %bb.92:                               ;   in Loop: Header=BB5_43 Depth=1
	v_mov_b32_e32 v20, 0
	s_mov_b64 s[22:23], 0
	v_mov_b32_e32 v21, 0
	s_mov_b64 s[24:25], s[4:5]
.LBB5_93:                               ;   Parent Loop BB5_43 Depth=1
                                        ; =>  This Inner Loop Header: Depth=2
	global_load_ubyte v6, v26, s[24:25]
	s_add_i32 s26, s26, -1
	s_waitcnt vmcnt(0)
	v_and_b32_e32 v25, 0xffff, v6
	v_lshlrev_b64 v[6:7], s22, v[25:26]
	s_add_u32 s22, s22, 8
	s_addc_u32 s23, s23, 0
	s_add_u32 s24, s24, 1
	s_addc_u32 s25, s25, 0
	v_or_b32_e32 v20, v6, v20
	s_cmp_lg_u32 s26, 0
	v_or_b32_e32 v21, v7, v21
	s_cbranch_scc1 .LBB5_93
	s_branch .LBB5_96
.LBB5_94:                               ;   in Loop: Header=BB5_43 Depth=1
	s_branch .LBB5_97
.LBB5_95:                               ;   in Loop: Header=BB5_43 Depth=1
	v_mov_b32_e32 v20, 0
	v_mov_b32_e32 v21, 0
.LBB5_96:                               ;   in Loop: Header=BB5_43 Depth=1
	s_cbranch_execnz .LBB5_98
.LBB5_97:                               ;   in Loop: Header=BB5_43 Depth=1
	global_load_dwordx2 v[20:21], v26, s[4:5]
.LBB5_98:                               ;   in Loop: Header=BB5_43 Depth=1
	v_readfirstlane_b32 s4, v32
	v_mov_b32_e32 v6, 0
	v_mov_b32_e32 v7, 0
	v_cmp_eq_u32_e64 s[4:5], s4, v32
	s_and_saveexec_b64 s[22:23], s[4:5]
	s_cbranch_execz .LBB5_104
; %bb.99:                               ;   in Loop: Header=BB5_43 Depth=1
	global_load_dwordx2 v[24:25], v26, s[6:7] offset:24 glc
	s_waitcnt vmcnt(0)
	buffer_wbinvl1_vol
	global_load_dwordx2 v[6:7], v26, s[6:7] offset:40
	global_load_dwordx2 v[22:23], v26, s[6:7]
	s_waitcnt vmcnt(1)
	v_and_b32_e32 v6, v6, v24
	v_and_b32_e32 v7, v7, v25
	v_mul_lo_u32 v7, v7, 24
	v_mul_hi_u32 v27, v6, 24
	v_mul_lo_u32 v6, v6, 24
	v_add_u32_e32 v7, v27, v7
	s_waitcnt vmcnt(0)
	v_add_co_u32_e32 v6, vcc, v22, v6
	v_addc_co_u32_e32 v7, vcc, v23, v7, vcc
	global_load_dwordx2 v[22:23], v[6:7], off glc
	s_waitcnt vmcnt(0)
	global_atomic_cmpswap_x2 v[6:7], v26, v[22:25], s[6:7] offset:24 glc
	s_waitcnt vmcnt(0)
	buffer_wbinvl1_vol
	v_cmp_ne_u64_e32 vcc, v[6:7], v[24:25]
	s_and_saveexec_b64 s[24:25], vcc
	s_cbranch_execz .LBB5_103
; %bb.100:                              ;   in Loop: Header=BB5_43 Depth=1
	s_mov_b64 s[26:27], 0
.LBB5_101:                              ;   Parent Loop BB5_43 Depth=1
                                        ; =>  This Inner Loop Header: Depth=2
	s_sleep 1
	global_load_dwordx2 v[22:23], v26, s[6:7] offset:40
	global_load_dwordx2 v[27:28], v26, s[6:7]
	v_mov_b32_e32 v25, v7
	v_mov_b32_e32 v24, v6
	s_waitcnt vmcnt(1)
	v_and_b32_e32 v6, v22, v24
	s_waitcnt vmcnt(0)
	v_mad_u64_u32 v[6:7], s[28:29], v6, 24, v[27:28]
	v_and_b32_e32 v22, v23, v25
	v_mad_u64_u32 v[22:23], s[28:29], v22, 24, v[7:8]
	v_mov_b32_e32 v7, v22
	global_load_dwordx2 v[22:23], v[6:7], off glc
	s_waitcnt vmcnt(0)
	global_atomic_cmpswap_x2 v[6:7], v26, v[22:25], s[6:7] offset:24 glc
	s_waitcnt vmcnt(0)
	buffer_wbinvl1_vol
	v_cmp_eq_u64_e32 vcc, v[6:7], v[24:25]
	s_or_b64 s[26:27], vcc, s[26:27]
	s_andn2_b64 exec, exec, s[26:27]
	s_cbranch_execnz .LBB5_101
; %bb.102:                              ;   in Loop: Header=BB5_43 Depth=1
	s_or_b64 exec, exec, s[26:27]
.LBB5_103:                              ;   in Loop: Header=BB5_43 Depth=1
	s_or_b64 exec, exec, s[24:25]
.LBB5_104:                              ;   in Loop: Header=BB5_43 Depth=1
	s_or_b64 exec, exec, s[22:23]
	global_load_dwordx2 v[27:28], v26, s[6:7] offset:40
	global_load_dwordx4 v[22:25], v26, s[6:7]
	v_readfirstlane_b32 s22, v6
	v_readfirstlane_b32 s23, v7
	s_mov_b64 s[24:25], exec
	s_waitcnt vmcnt(1)
	v_readfirstlane_b32 s26, v27
	v_readfirstlane_b32 s27, v28
	s_and_b64 s[26:27], s[22:23], s[26:27]
	s_mul_i32 s15, s27, 24
	s_mul_hi_u32 s28, s26, 24
	s_mul_i32 s29, s26, 24
	s_add_i32 s15, s28, s15
	v_mov_b32_e32 v6, s15
	s_waitcnt vmcnt(0)
	v_add_co_u32_e32 v27, vcc, s29, v22
	v_addc_co_u32_e32 v28, vcc, v23, v6, vcc
	s_and_saveexec_b64 s[28:29], s[4:5]
	s_cbranch_execz .LBB5_106
; %bb.105:                              ;   in Loop: Header=BB5_43 Depth=1
	v_mov_b32_e32 v6, s24
	v_mov_b32_e32 v7, s25
	global_store_dwordx4 v[27:28], v[6:9], off offset:8
.LBB5_106:                              ;   in Loop: Header=BB5_43 Depth=1
	s_or_b64 exec, exec, s[28:29]
	s_lshl_b64 s[24:25], s[26:27], 12
	v_mov_b32_e32 v6, s25
	v_add_co_u32_e32 v24, vcc, s24, v24
	v_addc_co_u32_e32 v30, vcc, v25, v6, vcc
	v_cmp_gt_u64_e64 vcc, s[18:19], 56
	v_or_b32_e32 v7, v0, v29
	s_lshl_b32 s15, s20, 2
	v_cndmask_b32_e32 v0, v7, v0, vcc
	s_add_i32 s15, s15, 28
	v_or_b32_e32 v6, 0, v1
	s_and_b32 s15, s15, 0x1e0
	v_and_b32_e32 v0, 0xffffff1f, v0
	v_cndmask_b32_e32 v1, v6, v1, vcc
	v_or_b32_e32 v0, s15, v0
	v_readfirstlane_b32 s24, v24
	v_readfirstlane_b32 s25, v30
	s_nop 4
	global_store_dwordx4 v31, v[0:3], s[24:25]
	global_store_dwordx4 v31, v[10:13], s[24:25] offset:16
	global_store_dwordx4 v31, v[14:17], s[24:25] offset:32
	;; [unrolled: 1-line block ×3, first 2 shown]
	s_and_saveexec_b64 s[24:25], s[4:5]
	s_cbranch_execz .LBB5_114
; %bb.107:                              ;   in Loop: Header=BB5_43 Depth=1
	global_load_dwordx2 v[12:13], v26, s[6:7] offset:32 glc
	global_load_dwordx2 v[0:1], v26, s[6:7] offset:40
	v_mov_b32_e32 v10, s22
	v_mov_b32_e32 v11, s23
	s_waitcnt vmcnt(0)
	v_readfirstlane_b32 s26, v0
	v_readfirstlane_b32 s27, v1
	s_and_b64 s[26:27], s[26:27], s[22:23]
	s_mul_i32 s15, s27, 24
	s_mul_hi_u32 s27, s26, 24
	s_mul_i32 s26, s26, 24
	s_add_i32 s15, s27, s15
	v_mov_b32_e32 v0, s15
	v_add_co_u32_e32 v6, vcc, s26, v22
	v_addc_co_u32_e32 v7, vcc, v23, v0, vcc
	global_store_dwordx2 v[6:7], v[12:13], off
	s_waitcnt vmcnt(0)
	global_atomic_cmpswap_x2 v[2:3], v26, v[10:13], s[6:7] offset:32 glc
	s_waitcnt vmcnt(0)
	v_cmp_ne_u64_e32 vcc, v[2:3], v[12:13]
	s_and_saveexec_b64 s[26:27], vcc
	s_cbranch_execz .LBB5_110
; %bb.108:                              ;   in Loop: Header=BB5_43 Depth=1
	s_mov_b64 s[28:29], 0
.LBB5_109:                              ;   Parent Loop BB5_43 Depth=1
                                        ; =>  This Inner Loop Header: Depth=2
	s_sleep 1
	global_store_dwordx2 v[6:7], v[2:3], off
	v_mov_b32_e32 v0, s22
	v_mov_b32_e32 v1, s23
	s_waitcnt vmcnt(0)
	global_atomic_cmpswap_x2 v[0:1], v26, v[0:3], s[6:7] offset:32 glc
	s_waitcnt vmcnt(0)
	v_cmp_eq_u64_e32 vcc, v[0:1], v[2:3]
	v_mov_b32_e32 v3, v1
	s_or_b64 s[28:29], vcc, s[28:29]
	v_mov_b32_e32 v2, v0
	s_andn2_b64 exec, exec, s[28:29]
	s_cbranch_execnz .LBB5_109
.LBB5_110:                              ;   in Loop: Header=BB5_43 Depth=1
	s_or_b64 exec, exec, s[26:27]
	global_load_dwordx2 v[0:1], v26, s[6:7] offset:16
	s_mov_b64 s[28:29], exec
	v_mbcnt_lo_u32_b32 v2, s28, 0
	v_mbcnt_hi_u32_b32 v2, s29, v2
	v_cmp_eq_u32_e32 vcc, 0, v2
	s_and_saveexec_b64 s[26:27], vcc
	s_cbranch_execz .LBB5_112
; %bb.111:                              ;   in Loop: Header=BB5_43 Depth=1
	s_bcnt1_i32_b64 s15, s[28:29]
	v_mov_b32_e32 v25, s15
	s_waitcnt vmcnt(0)
	global_atomic_add_x2 v[0:1], v[25:26], off offset:8
.LBB5_112:                              ;   in Loop: Header=BB5_43 Depth=1
	s_or_b64 exec, exec, s[26:27]
	s_waitcnt vmcnt(0)
	global_load_dwordx2 v[2:3], v[0:1], off offset:16
	s_waitcnt vmcnt(0)
	v_cmp_eq_u64_e32 vcc, 0, v[2:3]
	s_cbranch_vccnz .LBB5_114
; %bb.113:                              ;   in Loop: Header=BB5_43 Depth=1
	global_load_dword v25, v[0:1], off offset:24
	s_waitcnt vmcnt(0)
	v_and_b32_e32 v0, 0xffffff, v25
	v_readfirstlane_b32 m0, v0
	global_store_dwordx2 v[2:3], v[25:26], off
	s_sendmsg sendmsg(MSG_INTERRUPT)
.LBB5_114:                              ;   in Loop: Header=BB5_43 Depth=1
	s_or_b64 exec, exec, s[24:25]
	v_add_co_u32_e32 v0, vcc, v24, v31
	v_addc_co_u32_e32 v1, vcc, 0, v30, vcc
	s_branch .LBB5_118
.LBB5_115:                              ;   in Loop: Header=BB5_118 Depth=2
	s_or_b64 exec, exec, s[24:25]
	v_readfirstlane_b32 s15, v2
	s_cmp_eq_u32 s15, 0
	s_cbranch_scc1 .LBB5_117
; %bb.116:                              ;   in Loop: Header=BB5_118 Depth=2
	s_sleep 1
	s_cbranch_execnz .LBB5_118
	s_branch .LBB5_120
.LBB5_117:                              ;   in Loop: Header=BB5_43 Depth=1
	s_branch .LBB5_120
.LBB5_118:                              ;   Parent Loop BB5_43 Depth=1
                                        ; =>  This Inner Loop Header: Depth=2
	v_mov_b32_e32 v2, 1
	s_and_saveexec_b64 s[24:25], s[4:5]
	s_cbranch_execz .LBB5_115
; %bb.119:                              ;   in Loop: Header=BB5_118 Depth=2
	global_load_dword v2, v[27:28], off offset:20 glc
	s_waitcnt vmcnt(0)
	buffer_wbinvl1_vol
	v_and_b32_e32 v2, 1, v2
	s_branch .LBB5_115
.LBB5_120:                              ;   in Loop: Header=BB5_43 Depth=1
	global_load_dwordx4 v[0:3], v[0:1], off
	s_and_saveexec_b64 s[24:25], s[4:5]
	s_cbranch_execz .LBB5_42
; %bb.121:                              ;   in Loop: Header=BB5_43 Depth=1
	global_load_dwordx2 v[2:3], v26, s[6:7] offset:40
	global_load_dwordx2 v[6:7], v26, s[6:7] offset:24 glc
	global_load_dwordx2 v[13:14], v26, s[6:7]
	v_mov_b32_e32 v11, s23
	s_waitcnt vmcnt(2)
	v_add_co_u32_e32 v12, vcc, 1, v2
	v_addc_co_u32_e32 v15, vcc, 0, v3, vcc
	v_add_co_u32_e32 v10, vcc, s22, v12
	v_addc_co_u32_e32 v11, vcc, v15, v11, vcc
	v_cmp_eq_u64_e32 vcc, 0, v[10:11]
	v_cndmask_b32_e32 v11, v11, v15, vcc
	v_cndmask_b32_e32 v10, v10, v12, vcc
	v_and_b32_e32 v3, v11, v3
	v_and_b32_e32 v2, v10, v2
	v_mul_lo_u32 v3, v3, 24
	v_mul_hi_u32 v15, v2, 24
	v_mul_lo_u32 v2, v2, 24
	s_waitcnt vmcnt(1)
	v_mov_b32_e32 v12, v6
	v_add_u32_e32 v3, v15, v3
	s_waitcnt vmcnt(0)
	v_add_co_u32_e32 v2, vcc, v13, v2
	v_addc_co_u32_e32 v3, vcc, v14, v3, vcc
	global_store_dwordx2 v[2:3], v[6:7], off
	v_mov_b32_e32 v13, v7
	s_waitcnt vmcnt(0)
	global_atomic_cmpswap_x2 v[12:13], v26, v[10:13], s[6:7] offset:24 glc
	s_waitcnt vmcnt(0)
	v_cmp_ne_u64_e32 vcc, v[12:13], v[6:7]
	s_and_b64 exec, exec, vcc
	s_cbranch_execz .LBB5_42
; %bb.122:                              ;   in Loop: Header=BB5_43 Depth=1
	s_mov_b64 s[4:5], 0
.LBB5_123:                              ;   Parent Loop BB5_43 Depth=1
                                        ; =>  This Inner Loop Header: Depth=2
	s_sleep 1
	global_store_dwordx2 v[2:3], v[12:13], off
	s_waitcnt vmcnt(0)
	global_atomic_cmpswap_x2 v[6:7], v26, v[10:13], s[6:7] offset:24 glc
	s_waitcnt vmcnt(0)
	v_cmp_eq_u64_e32 vcc, v[6:7], v[12:13]
	v_mov_b32_e32 v13, v7
	s_or_b64 s[4:5], vcc, s[4:5]
	v_mov_b32_e32 v12, v6
	s_andn2_b64 exec, exec, s[4:5]
	s_cbranch_execnz .LBB5_123
	s_branch .LBB5_42
.LBB5_124:
	s_branch .LBB5_152
.LBB5_125:
                                        ; implicit-def: $vgpr0_vgpr1
	s_cbranch_execz .LBB5_152
; %bb.126:
	v_readfirstlane_b32 s4, v32
	v_mov_b32_e32 v7, 0
	v_mov_b32_e32 v8, 0
	v_cmp_eq_u32_e64 s[4:5], s4, v32
	s_and_saveexec_b64 s[16:17], s[4:5]
	s_cbranch_execz .LBB5_132
; %bb.127:
	s_waitcnt vmcnt(0)
	v_mov_b32_e32 v0, 0
	global_load_dwordx2 v[9:10], v0, s[6:7] offset:24 glc
	s_waitcnt vmcnt(0)
	buffer_wbinvl1_vol
	global_load_dwordx2 v[1:2], v0, s[6:7] offset:40
	global_load_dwordx2 v[6:7], v0, s[6:7]
	s_waitcnt vmcnt(1)
	v_and_b32_e32 v1, v1, v9
	v_and_b32_e32 v2, v2, v10
	v_mul_lo_u32 v2, v2, 24
	v_mul_hi_u32 v3, v1, 24
	v_mul_lo_u32 v1, v1, 24
	v_add_u32_e32 v2, v3, v2
	s_waitcnt vmcnt(0)
	v_add_co_u32_e32 v1, vcc, v6, v1
	v_addc_co_u32_e32 v2, vcc, v7, v2, vcc
	global_load_dwordx2 v[7:8], v[1:2], off glc
	s_waitcnt vmcnt(0)
	global_atomic_cmpswap_x2 v[7:8], v0, v[7:10], s[6:7] offset:24 glc
	s_waitcnt vmcnt(0)
	buffer_wbinvl1_vol
	v_cmp_ne_u64_e32 vcc, v[7:8], v[9:10]
	s_and_saveexec_b64 s[18:19], vcc
	s_cbranch_execz .LBB5_131
; %bb.128:
	s_mov_b64 s[20:21], 0
.LBB5_129:                              ; =>This Inner Loop Header: Depth=1
	s_sleep 1
	global_load_dwordx2 v[1:2], v0, s[6:7] offset:40
	global_load_dwordx2 v[11:12], v0, s[6:7]
	v_mov_b32_e32 v10, v8
	v_mov_b32_e32 v9, v7
	s_waitcnt vmcnt(1)
	v_and_b32_e32 v1, v1, v9
	s_waitcnt vmcnt(0)
	v_mad_u64_u32 v[6:7], s[22:23], v1, 24, v[11:12]
	v_and_b32_e32 v2, v2, v10
	v_mov_b32_e32 v1, v7
	v_mad_u64_u32 v[1:2], s[22:23], v2, 24, v[1:2]
	v_mov_b32_e32 v7, v1
	global_load_dwordx2 v[7:8], v[6:7], off glc
	s_waitcnt vmcnt(0)
	global_atomic_cmpswap_x2 v[7:8], v0, v[7:10], s[6:7] offset:24 glc
	s_waitcnt vmcnt(0)
	buffer_wbinvl1_vol
	v_cmp_eq_u64_e32 vcc, v[7:8], v[9:10]
	s_or_b64 s[20:21], vcc, s[20:21]
	s_andn2_b64 exec, exec, s[20:21]
	s_cbranch_execnz .LBB5_129
; %bb.130:
	s_or_b64 exec, exec, s[20:21]
.LBB5_131:
	s_or_b64 exec, exec, s[18:19]
.LBB5_132:
	s_or_b64 exec, exec, s[16:17]
	v_mov_b32_e32 v6, 0
	global_load_dwordx2 v[9:10], v6, s[6:7] offset:40
	global_load_dwordx4 v[0:3], v6, s[6:7]
	v_readfirstlane_b32 s16, v7
	v_readfirstlane_b32 s17, v8
	s_mov_b64 s[18:19], exec
	s_waitcnt vmcnt(1)
	v_readfirstlane_b32 s20, v9
	v_readfirstlane_b32 s21, v10
	s_and_b64 s[20:21], s[16:17], s[20:21]
	s_mul_i32 s15, s21, 24
	s_mul_hi_u32 s22, s20, 24
	s_mul_i32 s23, s20, 24
	s_add_i32 s15, s22, s15
	v_mov_b32_e32 v7, s15
	s_waitcnt vmcnt(0)
	v_add_co_u32_e32 v8, vcc, s23, v0
	v_addc_co_u32_e32 v9, vcc, v1, v7, vcc
	s_and_saveexec_b64 s[22:23], s[4:5]
	s_cbranch_execz .LBB5_134
; %bb.133:
	v_mov_b32_e32 v10, s18
	v_mov_b32_e32 v11, s19
	v_mov_b32_e32 v12, 2
	v_mov_b32_e32 v13, 1
	global_store_dwordx4 v[8:9], v[10:13], off offset:8
.LBB5_134:
	s_or_b64 exec, exec, s[22:23]
	s_lshl_b64 s[18:19], s[20:21], 12
	v_mov_b32_e32 v7, s19
	v_add_co_u32_e32 v2, vcc, s18, v2
	v_addc_co_u32_e32 v3, vcc, v3, v7, vcc
	s_movk_i32 s15, 0xff1f
	v_and_or_b32 v4, v4, s15, 32
	v_add_co_u32_e32 v10, vcc, v2, v31
	s_mov_b32 s20, 0
	v_mov_b32_e32 v7, v6
	v_readfirstlane_b32 s18, v2
	v_readfirstlane_b32 s19, v3
	v_addc_co_u32_e32 v11, vcc, 0, v3, vcc
	s_mov_b32 s21, s20
	s_mov_b32 s22, s20
	;; [unrolled: 1-line block ×3, first 2 shown]
	s_nop 0
	global_store_dwordx4 v31, v[4:7], s[18:19]
	v_mov_b32_e32 v2, s20
	v_mov_b32_e32 v3, s21
	;; [unrolled: 1-line block ×4, first 2 shown]
	global_store_dwordx4 v31, v[2:5], s[18:19] offset:16
	global_store_dwordx4 v31, v[2:5], s[18:19] offset:32
	;; [unrolled: 1-line block ×3, first 2 shown]
	s_and_saveexec_b64 s[18:19], s[4:5]
	s_cbranch_execz .LBB5_142
; %bb.135:
	v_mov_b32_e32 v6, 0
	global_load_dwordx2 v[14:15], v6, s[6:7] offset:32 glc
	global_load_dwordx2 v[2:3], v6, s[6:7] offset:40
	v_mov_b32_e32 v12, s16
	v_mov_b32_e32 v13, s17
	s_waitcnt vmcnt(0)
	v_readfirstlane_b32 s20, v2
	v_readfirstlane_b32 s21, v3
	s_and_b64 s[20:21], s[20:21], s[16:17]
	s_mul_i32 s15, s21, 24
	s_mul_hi_u32 s21, s20, 24
	s_mul_i32 s20, s20, 24
	s_add_i32 s15, s21, s15
	v_mov_b32_e32 v2, s15
	v_add_co_u32_e32 v4, vcc, s20, v0
	v_addc_co_u32_e32 v5, vcc, v1, v2, vcc
	global_store_dwordx2 v[4:5], v[14:15], off
	s_waitcnt vmcnt(0)
	global_atomic_cmpswap_x2 v[2:3], v6, v[12:15], s[6:7] offset:32 glc
	s_waitcnt vmcnt(0)
	v_cmp_ne_u64_e32 vcc, v[2:3], v[14:15]
	s_and_saveexec_b64 s[20:21], vcc
	s_cbranch_execz .LBB5_138
; %bb.136:
	s_mov_b64 s[22:23], 0
.LBB5_137:                              ; =>This Inner Loop Header: Depth=1
	s_sleep 1
	global_store_dwordx2 v[4:5], v[2:3], off
	v_mov_b32_e32 v0, s16
	v_mov_b32_e32 v1, s17
	s_waitcnt vmcnt(0)
	global_atomic_cmpswap_x2 v[0:1], v6, v[0:3], s[6:7] offset:32 glc
	s_waitcnt vmcnt(0)
	v_cmp_eq_u64_e32 vcc, v[0:1], v[2:3]
	v_mov_b32_e32 v3, v1
	s_or_b64 s[22:23], vcc, s[22:23]
	v_mov_b32_e32 v2, v0
	s_andn2_b64 exec, exec, s[22:23]
	s_cbranch_execnz .LBB5_137
.LBB5_138:
	s_or_b64 exec, exec, s[20:21]
	v_mov_b32_e32 v3, 0
	global_load_dwordx2 v[0:1], v3, s[6:7] offset:16
	s_mov_b64 s[20:21], exec
	v_mbcnt_lo_u32_b32 v2, s20, 0
	v_mbcnt_hi_u32_b32 v2, s21, v2
	v_cmp_eq_u32_e32 vcc, 0, v2
	s_and_saveexec_b64 s[22:23], vcc
	s_cbranch_execz .LBB5_140
; %bb.139:
	s_bcnt1_i32_b64 s15, s[20:21]
	v_mov_b32_e32 v2, s15
	s_waitcnt vmcnt(0)
	global_atomic_add_x2 v[0:1], v[2:3], off offset:8
.LBB5_140:
	s_or_b64 exec, exec, s[22:23]
	s_waitcnt vmcnt(0)
	global_load_dwordx2 v[2:3], v[0:1], off offset:16
	s_waitcnt vmcnt(0)
	v_cmp_eq_u64_e32 vcc, 0, v[2:3]
	s_cbranch_vccnz .LBB5_142
; %bb.141:
	global_load_dword v0, v[0:1], off offset:24
	v_mov_b32_e32 v1, 0
	s_waitcnt vmcnt(0)
	global_store_dwordx2 v[2:3], v[0:1], off
	v_and_b32_e32 v0, 0xffffff, v0
	v_readfirstlane_b32 m0, v0
	s_sendmsg sendmsg(MSG_INTERRUPT)
.LBB5_142:
	s_or_b64 exec, exec, s[18:19]
	s_branch .LBB5_146
.LBB5_143:                              ;   in Loop: Header=BB5_146 Depth=1
	s_or_b64 exec, exec, s[18:19]
	v_readfirstlane_b32 s15, v0
	s_cmp_eq_u32 s15, 0
	s_cbranch_scc1 .LBB5_145
; %bb.144:                              ;   in Loop: Header=BB5_146 Depth=1
	s_sleep 1
	s_cbranch_execnz .LBB5_146
	s_branch .LBB5_148
.LBB5_145:
	s_branch .LBB5_148
.LBB5_146:                              ; =>This Inner Loop Header: Depth=1
	v_mov_b32_e32 v0, 1
	s_and_saveexec_b64 s[18:19], s[4:5]
	s_cbranch_execz .LBB5_143
; %bb.147:                              ;   in Loop: Header=BB5_146 Depth=1
	global_load_dword v0, v[8:9], off offset:20 glc
	s_waitcnt vmcnt(0)
	buffer_wbinvl1_vol
	v_and_b32_e32 v0, 1, v0
	s_branch .LBB5_143
.LBB5_148:
	global_load_dwordx2 v[0:1], v[10:11], off
	s_and_saveexec_b64 s[18:19], s[4:5]
	s_cbranch_execz .LBB5_151
; %bb.149:
	v_mov_b32_e32 v8, 0
	global_load_dwordx2 v[4:5], v8, s[6:7] offset:40
	global_load_dwordx2 v[9:10], v8, s[6:7] offset:24 glc
	global_load_dwordx2 v[6:7], v8, s[6:7]
	v_mov_b32_e32 v3, s17
	s_mov_b64 s[4:5], 0
	s_waitcnt vmcnt(2)
	v_add_co_u32_e32 v11, vcc, 1, v4
	v_addc_co_u32_e32 v12, vcc, 0, v5, vcc
	v_add_co_u32_e32 v2, vcc, s16, v11
	v_addc_co_u32_e32 v3, vcc, v12, v3, vcc
	v_cmp_eq_u64_e32 vcc, 0, v[2:3]
	v_cndmask_b32_e32 v3, v3, v12, vcc
	v_cndmask_b32_e32 v2, v2, v11, vcc
	v_and_b32_e32 v5, v3, v5
	v_and_b32_e32 v4, v2, v4
	v_mul_lo_u32 v5, v5, 24
	v_mul_hi_u32 v11, v4, 24
	v_mul_lo_u32 v12, v4, 24
	s_waitcnt vmcnt(1)
	v_mov_b32_e32 v4, v9
	v_add_u32_e32 v5, v11, v5
	s_waitcnt vmcnt(0)
	v_add_co_u32_e32 v6, vcc, v6, v12
	v_addc_co_u32_e32 v7, vcc, v7, v5, vcc
	global_store_dwordx2 v[6:7], v[9:10], off
	v_mov_b32_e32 v5, v10
	s_waitcnt vmcnt(0)
	global_atomic_cmpswap_x2 v[4:5], v8, v[2:5], s[6:7] offset:24 glc
	s_waitcnt vmcnt(0)
	v_cmp_ne_u64_e32 vcc, v[4:5], v[9:10]
	s_and_b64 exec, exec, vcc
	s_cbranch_execz .LBB5_151
.LBB5_150:                              ; =>This Inner Loop Header: Depth=1
	s_sleep 1
	global_store_dwordx2 v[6:7], v[4:5], off
	s_waitcnt vmcnt(0)
	global_atomic_cmpswap_x2 v[9:10], v8, v[2:5], s[6:7] offset:24 glc
	s_waitcnt vmcnt(0)
	v_cmp_eq_u64_e32 vcc, v[9:10], v[4:5]
	v_mov_b32_e32 v4, v9
	s_or_b64 s[4:5], vcc, s[4:5]
	v_mov_b32_e32 v5, v10
	s_andn2_b64 exec, exec, s[4:5]
	s_cbranch_execnz .LBB5_150
.LBB5_151:
	s_or_b64 exec, exec, s[18:19]
.LBB5_152:
	s_getpc_b64 s[16:17]
	s_add_u32 s16, s16, __PRETTY_FUNCTION__._ZL21merge_different_sizesRN8migraphx4test12test_managerE@rel32@lo+4
	s_addc_u32 s17, s17, __PRETTY_FUNCTION__._ZL21merge_different_sizesRN8migraphx4test12test_managerE@rel32@hi+12
	s_cmp_lg_u64 s[16:17], 0
	s_cbranch_scc0 .LBB5_237
; %bb.153:
	s_waitcnt vmcnt(0)
	v_and_b32_e32 v6, -3, v0
	v_mov_b32_e32 v7, v1
	s_mov_b64 s[18:19], 59
	v_mov_b32_e32 v26, 0
	v_mov_b32_e32 v4, 2
	;; [unrolled: 1-line block ×3, first 2 shown]
	s_branch .LBB5_155
.LBB5_154:                              ;   in Loop: Header=BB5_155 Depth=1
	s_or_b64 exec, exec, s[24:25]
	s_sub_u32 s18, s18, s20
	s_subb_u32 s19, s19, s21
	s_add_u32 s16, s16, s20
	s_addc_u32 s17, s17, s21
	s_cmp_lg_u64 s[18:19], 0
	s_cbranch_scc0 .LBB5_236
.LBB5_155:                              ; =>This Loop Header: Depth=1
                                        ;     Child Loop BB5_158 Depth 2
                                        ;     Child Loop BB5_165 Depth 2
	;; [unrolled: 1-line block ×11, first 2 shown]
	v_cmp_lt_u64_e64 s[4:5], s[18:19], 56
	v_cmp_gt_u64_e64 s[22:23], s[18:19], 7
	s_and_b64 s[4:5], s[4:5], exec
	s_cselect_b32 s21, s19, 0
	s_cselect_b32 s20, s18, 56
	s_and_b64 vcc, exec, s[22:23]
	s_cbranch_vccnz .LBB5_160
; %bb.156:                              ;   in Loop: Header=BB5_155 Depth=1
	s_waitcnt vmcnt(0)
	v_mov_b32_e32 v8, 0
	s_cmp_eq_u64 s[18:19], 0
	v_mov_b32_e32 v9, 0
	s_mov_b64 s[4:5], 0
	s_cbranch_scc1 .LBB5_159
; %bb.157:                              ;   in Loop: Header=BB5_155 Depth=1
	v_mov_b32_e32 v8, 0
	s_lshl_b64 s[22:23], s[20:21], 3
	s_mov_b64 s[24:25], 0
	v_mov_b32_e32 v9, 0
	s_mov_b64 s[26:27], s[16:17]
.LBB5_158:                              ;   Parent Loop BB5_155 Depth=1
                                        ; =>  This Inner Loop Header: Depth=2
	global_load_ubyte v2, v26, s[26:27]
	s_waitcnt vmcnt(0)
	v_and_b32_e32 v25, 0xffff, v2
	v_lshlrev_b64 v[2:3], s24, v[25:26]
	s_add_u32 s24, s24, 8
	s_addc_u32 s25, s25, 0
	s_add_u32 s26, s26, 1
	s_addc_u32 s27, s27, 0
	v_or_b32_e32 v8, v2, v8
	s_cmp_lg_u32 s22, s24
	v_or_b32_e32 v9, v3, v9
	s_cbranch_scc1 .LBB5_158
.LBB5_159:                              ;   in Loop: Header=BB5_155 Depth=1
	s_mov_b32 s15, 0
	s_andn2_b64 vcc, exec, s[4:5]
	s_mov_b64 s[4:5], s[16:17]
	s_cbranch_vccz .LBB5_161
	s_branch .LBB5_162
.LBB5_160:                              ;   in Loop: Header=BB5_155 Depth=1
                                        ; implicit-def: $sgpr15
	s_mov_b64 s[4:5], s[16:17]
.LBB5_161:                              ;   in Loop: Header=BB5_155 Depth=1
	global_load_dwordx2 v[8:9], v26, s[16:17]
	s_add_i32 s15, s20, -8
	s_add_u32 s4, s16, 8
	s_addc_u32 s5, s17, 0
.LBB5_162:                              ;   in Loop: Header=BB5_155 Depth=1
	s_cmp_gt_u32 s15, 7
	s_cbranch_scc1 .LBB5_166
; %bb.163:                              ;   in Loop: Header=BB5_155 Depth=1
	s_cmp_eq_u32 s15, 0
	s_cbranch_scc1 .LBB5_167
; %bb.164:                              ;   in Loop: Header=BB5_155 Depth=1
	v_mov_b32_e32 v10, 0
	s_mov_b64 s[22:23], 0
	v_mov_b32_e32 v11, 0
	s_mov_b64 s[24:25], 0
.LBB5_165:                              ;   Parent Loop BB5_155 Depth=1
                                        ; =>  This Inner Loop Header: Depth=2
	s_add_u32 s26, s4, s24
	s_addc_u32 s27, s5, s25
	global_load_ubyte v2, v26, s[26:27]
	s_add_u32 s24, s24, 1
	s_addc_u32 s25, s25, 0
	s_waitcnt vmcnt(0)
	v_and_b32_e32 v25, 0xffff, v2
	v_lshlrev_b64 v[2:3], s22, v[25:26]
	s_add_u32 s22, s22, 8
	s_addc_u32 s23, s23, 0
	v_or_b32_e32 v10, v2, v10
	s_cmp_lg_u32 s15, s24
	v_or_b32_e32 v11, v3, v11
	s_cbranch_scc1 .LBB5_165
	s_branch .LBB5_168
.LBB5_166:                              ;   in Loop: Header=BB5_155 Depth=1
                                        ; implicit-def: $vgpr10_vgpr11
                                        ; implicit-def: $sgpr26
	s_branch .LBB5_169
.LBB5_167:                              ;   in Loop: Header=BB5_155 Depth=1
	v_mov_b32_e32 v10, 0
	v_mov_b32_e32 v11, 0
.LBB5_168:                              ;   in Loop: Header=BB5_155 Depth=1
	s_mov_b32 s26, 0
	s_cbranch_execnz .LBB5_170
.LBB5_169:                              ;   in Loop: Header=BB5_155 Depth=1
	global_load_dwordx2 v[10:11], v26, s[4:5]
	s_add_i32 s26, s15, -8
	s_add_u32 s4, s4, 8
	s_addc_u32 s5, s5, 0
.LBB5_170:                              ;   in Loop: Header=BB5_155 Depth=1
	s_cmp_gt_u32 s26, 7
	s_cbranch_scc1 .LBB5_174
; %bb.171:                              ;   in Loop: Header=BB5_155 Depth=1
	s_cmp_eq_u32 s26, 0
	s_cbranch_scc1 .LBB5_175
; %bb.172:                              ;   in Loop: Header=BB5_155 Depth=1
	v_mov_b32_e32 v12, 0
	s_mov_b64 s[22:23], 0
	v_mov_b32_e32 v13, 0
	s_mov_b64 s[24:25], 0
.LBB5_173:                              ;   Parent Loop BB5_155 Depth=1
                                        ; =>  This Inner Loop Header: Depth=2
	s_add_u32 s28, s4, s24
	s_addc_u32 s29, s5, s25
	global_load_ubyte v2, v26, s[28:29]
	s_add_u32 s24, s24, 1
	s_addc_u32 s25, s25, 0
	s_waitcnt vmcnt(0)
	v_and_b32_e32 v25, 0xffff, v2
	v_lshlrev_b64 v[2:3], s22, v[25:26]
	s_add_u32 s22, s22, 8
	s_addc_u32 s23, s23, 0
	v_or_b32_e32 v12, v2, v12
	s_cmp_lg_u32 s26, s24
	v_or_b32_e32 v13, v3, v13
	s_cbranch_scc1 .LBB5_173
	s_branch .LBB5_176
.LBB5_174:                              ;   in Loop: Header=BB5_155 Depth=1
                                        ; implicit-def: $sgpr15
	s_branch .LBB5_177
.LBB5_175:                              ;   in Loop: Header=BB5_155 Depth=1
	v_mov_b32_e32 v12, 0
	v_mov_b32_e32 v13, 0
.LBB5_176:                              ;   in Loop: Header=BB5_155 Depth=1
	s_mov_b32 s15, 0
	s_cbranch_execnz .LBB5_178
.LBB5_177:                              ;   in Loop: Header=BB5_155 Depth=1
	global_load_dwordx2 v[12:13], v26, s[4:5]
	s_add_i32 s15, s26, -8
	s_add_u32 s4, s4, 8
	s_addc_u32 s5, s5, 0
.LBB5_178:                              ;   in Loop: Header=BB5_155 Depth=1
	s_cmp_gt_u32 s15, 7
	s_cbranch_scc1 .LBB5_182
; %bb.179:                              ;   in Loop: Header=BB5_155 Depth=1
	s_cmp_eq_u32 s15, 0
	s_cbranch_scc1 .LBB5_183
; %bb.180:                              ;   in Loop: Header=BB5_155 Depth=1
	v_mov_b32_e32 v14, 0
	s_mov_b64 s[22:23], 0
	v_mov_b32_e32 v15, 0
	s_mov_b64 s[24:25], 0
.LBB5_181:                              ;   Parent Loop BB5_155 Depth=1
                                        ; =>  This Inner Loop Header: Depth=2
	s_add_u32 s26, s4, s24
	s_addc_u32 s27, s5, s25
	global_load_ubyte v2, v26, s[26:27]
	s_add_u32 s24, s24, 1
	s_addc_u32 s25, s25, 0
	s_waitcnt vmcnt(0)
	v_and_b32_e32 v25, 0xffff, v2
	v_lshlrev_b64 v[2:3], s22, v[25:26]
	s_add_u32 s22, s22, 8
	s_addc_u32 s23, s23, 0
	v_or_b32_e32 v14, v2, v14
	s_cmp_lg_u32 s15, s24
	v_or_b32_e32 v15, v3, v15
	s_cbranch_scc1 .LBB5_181
	s_branch .LBB5_184
.LBB5_182:                              ;   in Loop: Header=BB5_155 Depth=1
                                        ; implicit-def: $vgpr14_vgpr15
                                        ; implicit-def: $sgpr26
	s_branch .LBB5_185
.LBB5_183:                              ;   in Loop: Header=BB5_155 Depth=1
	v_mov_b32_e32 v14, 0
	v_mov_b32_e32 v15, 0
.LBB5_184:                              ;   in Loop: Header=BB5_155 Depth=1
	s_mov_b32 s26, 0
	s_cbranch_execnz .LBB5_186
.LBB5_185:                              ;   in Loop: Header=BB5_155 Depth=1
	global_load_dwordx2 v[14:15], v26, s[4:5]
	s_add_i32 s26, s15, -8
	s_add_u32 s4, s4, 8
	s_addc_u32 s5, s5, 0
.LBB5_186:                              ;   in Loop: Header=BB5_155 Depth=1
	s_cmp_gt_u32 s26, 7
	s_cbranch_scc1 .LBB5_190
; %bb.187:                              ;   in Loop: Header=BB5_155 Depth=1
	s_cmp_eq_u32 s26, 0
	s_cbranch_scc1 .LBB5_191
; %bb.188:                              ;   in Loop: Header=BB5_155 Depth=1
	v_mov_b32_e32 v16, 0
	s_mov_b64 s[22:23], 0
	v_mov_b32_e32 v17, 0
	s_mov_b64 s[24:25], 0
.LBB5_189:                              ;   Parent Loop BB5_155 Depth=1
                                        ; =>  This Inner Loop Header: Depth=2
	s_add_u32 s28, s4, s24
	s_addc_u32 s29, s5, s25
	global_load_ubyte v2, v26, s[28:29]
	s_add_u32 s24, s24, 1
	s_addc_u32 s25, s25, 0
	s_waitcnt vmcnt(0)
	v_and_b32_e32 v25, 0xffff, v2
	v_lshlrev_b64 v[2:3], s22, v[25:26]
	s_add_u32 s22, s22, 8
	s_addc_u32 s23, s23, 0
	v_or_b32_e32 v16, v2, v16
	s_cmp_lg_u32 s26, s24
	v_or_b32_e32 v17, v3, v17
	s_cbranch_scc1 .LBB5_189
	s_branch .LBB5_192
.LBB5_190:                              ;   in Loop: Header=BB5_155 Depth=1
                                        ; implicit-def: $sgpr15
	s_branch .LBB5_193
.LBB5_191:                              ;   in Loop: Header=BB5_155 Depth=1
	v_mov_b32_e32 v16, 0
	v_mov_b32_e32 v17, 0
.LBB5_192:                              ;   in Loop: Header=BB5_155 Depth=1
	s_mov_b32 s15, 0
	s_cbranch_execnz .LBB5_194
.LBB5_193:                              ;   in Loop: Header=BB5_155 Depth=1
	global_load_dwordx2 v[16:17], v26, s[4:5]
	s_add_i32 s15, s26, -8
	s_add_u32 s4, s4, 8
	s_addc_u32 s5, s5, 0
.LBB5_194:                              ;   in Loop: Header=BB5_155 Depth=1
	s_cmp_gt_u32 s15, 7
	s_cbranch_scc1 .LBB5_198
; %bb.195:                              ;   in Loop: Header=BB5_155 Depth=1
	s_cmp_eq_u32 s15, 0
	s_cbranch_scc1 .LBB5_199
; %bb.196:                              ;   in Loop: Header=BB5_155 Depth=1
	v_mov_b32_e32 v18, 0
	s_mov_b64 s[22:23], 0
	v_mov_b32_e32 v19, 0
	s_mov_b64 s[24:25], 0
.LBB5_197:                              ;   Parent Loop BB5_155 Depth=1
                                        ; =>  This Inner Loop Header: Depth=2
	s_add_u32 s26, s4, s24
	s_addc_u32 s27, s5, s25
	global_load_ubyte v2, v26, s[26:27]
	s_add_u32 s24, s24, 1
	s_addc_u32 s25, s25, 0
	s_waitcnt vmcnt(0)
	v_and_b32_e32 v25, 0xffff, v2
	v_lshlrev_b64 v[2:3], s22, v[25:26]
	s_add_u32 s22, s22, 8
	s_addc_u32 s23, s23, 0
	v_or_b32_e32 v18, v2, v18
	s_cmp_lg_u32 s15, s24
	v_or_b32_e32 v19, v3, v19
	s_cbranch_scc1 .LBB5_197
	s_branch .LBB5_200
.LBB5_198:                              ;   in Loop: Header=BB5_155 Depth=1
                                        ; implicit-def: $vgpr18_vgpr19
                                        ; implicit-def: $sgpr26
	s_branch .LBB5_201
.LBB5_199:                              ;   in Loop: Header=BB5_155 Depth=1
	v_mov_b32_e32 v18, 0
	v_mov_b32_e32 v19, 0
.LBB5_200:                              ;   in Loop: Header=BB5_155 Depth=1
	s_mov_b32 s26, 0
	s_cbranch_execnz .LBB5_202
.LBB5_201:                              ;   in Loop: Header=BB5_155 Depth=1
	global_load_dwordx2 v[18:19], v26, s[4:5]
	s_add_i32 s26, s15, -8
	s_add_u32 s4, s4, 8
	s_addc_u32 s5, s5, 0
.LBB5_202:                              ;   in Loop: Header=BB5_155 Depth=1
	s_cmp_gt_u32 s26, 7
	s_cbranch_scc1 .LBB5_206
; %bb.203:                              ;   in Loop: Header=BB5_155 Depth=1
	s_cmp_eq_u32 s26, 0
	s_cbranch_scc1 .LBB5_207
; %bb.204:                              ;   in Loop: Header=BB5_155 Depth=1
	v_mov_b32_e32 v20, 0
	s_mov_b64 s[22:23], 0
	v_mov_b32_e32 v21, 0
	s_mov_b64 s[24:25], s[4:5]
.LBB5_205:                              ;   Parent Loop BB5_155 Depth=1
                                        ; =>  This Inner Loop Header: Depth=2
	global_load_ubyte v2, v26, s[24:25]
	s_add_i32 s26, s26, -1
	s_waitcnt vmcnt(0)
	v_and_b32_e32 v25, 0xffff, v2
	v_lshlrev_b64 v[2:3], s22, v[25:26]
	s_add_u32 s22, s22, 8
	s_addc_u32 s23, s23, 0
	s_add_u32 s24, s24, 1
	s_addc_u32 s25, s25, 0
	v_or_b32_e32 v20, v2, v20
	s_cmp_lg_u32 s26, 0
	v_or_b32_e32 v21, v3, v21
	s_cbranch_scc1 .LBB5_205
	s_branch .LBB5_208
.LBB5_206:                              ;   in Loop: Header=BB5_155 Depth=1
	s_branch .LBB5_209
.LBB5_207:                              ;   in Loop: Header=BB5_155 Depth=1
	v_mov_b32_e32 v20, 0
	v_mov_b32_e32 v21, 0
.LBB5_208:                              ;   in Loop: Header=BB5_155 Depth=1
	s_cbranch_execnz .LBB5_210
.LBB5_209:                              ;   in Loop: Header=BB5_155 Depth=1
	global_load_dwordx2 v[20:21], v26, s[4:5]
.LBB5_210:                              ;   in Loop: Header=BB5_155 Depth=1
	v_readfirstlane_b32 s4, v32
	v_mov_b32_e32 v2, 0
	v_mov_b32_e32 v3, 0
	v_cmp_eq_u32_e64 s[4:5], s4, v32
	s_and_saveexec_b64 s[22:23], s[4:5]
	s_cbranch_execz .LBB5_216
; %bb.211:                              ;   in Loop: Header=BB5_155 Depth=1
	global_load_dwordx2 v[24:25], v26, s[6:7] offset:24 glc
	s_waitcnt vmcnt(0)
	buffer_wbinvl1_vol
	global_load_dwordx2 v[2:3], v26, s[6:7] offset:40
	global_load_dwordx2 v[22:23], v26, s[6:7]
	s_waitcnt vmcnt(1)
	v_and_b32_e32 v2, v2, v24
	v_and_b32_e32 v3, v3, v25
	v_mul_lo_u32 v3, v3, 24
	v_mul_hi_u32 v27, v2, 24
	v_mul_lo_u32 v2, v2, 24
	v_add_u32_e32 v3, v27, v3
	s_waitcnt vmcnt(0)
	v_add_co_u32_e32 v2, vcc, v22, v2
	v_addc_co_u32_e32 v3, vcc, v23, v3, vcc
	global_load_dwordx2 v[22:23], v[2:3], off glc
	s_waitcnt vmcnt(0)
	global_atomic_cmpswap_x2 v[2:3], v26, v[22:25], s[6:7] offset:24 glc
	s_waitcnt vmcnt(0)
	buffer_wbinvl1_vol
	v_cmp_ne_u64_e32 vcc, v[2:3], v[24:25]
	s_and_saveexec_b64 s[24:25], vcc
	s_cbranch_execz .LBB5_215
; %bb.212:                              ;   in Loop: Header=BB5_155 Depth=1
	s_mov_b64 s[26:27], 0
.LBB5_213:                              ;   Parent Loop BB5_155 Depth=1
                                        ; =>  This Inner Loop Header: Depth=2
	s_sleep 1
	global_load_dwordx2 v[22:23], v26, s[6:7] offset:40
	global_load_dwordx2 v[27:28], v26, s[6:7]
	v_mov_b32_e32 v25, v3
	v_mov_b32_e32 v24, v2
	s_waitcnt vmcnt(1)
	v_and_b32_e32 v2, v22, v24
	s_waitcnt vmcnt(0)
	v_mad_u64_u32 v[2:3], s[28:29], v2, 24, v[27:28]
	v_and_b32_e32 v22, v23, v25
	v_mad_u64_u32 v[22:23], s[28:29], v22, 24, v[3:4]
	v_mov_b32_e32 v3, v22
	global_load_dwordx2 v[22:23], v[2:3], off glc
	s_waitcnt vmcnt(0)
	global_atomic_cmpswap_x2 v[2:3], v26, v[22:25], s[6:7] offset:24 glc
	s_waitcnt vmcnt(0)
	buffer_wbinvl1_vol
	v_cmp_eq_u64_e32 vcc, v[2:3], v[24:25]
	s_or_b64 s[26:27], vcc, s[26:27]
	s_andn2_b64 exec, exec, s[26:27]
	s_cbranch_execnz .LBB5_213
; %bb.214:                              ;   in Loop: Header=BB5_155 Depth=1
	s_or_b64 exec, exec, s[26:27]
.LBB5_215:                              ;   in Loop: Header=BB5_155 Depth=1
	s_or_b64 exec, exec, s[24:25]
.LBB5_216:                              ;   in Loop: Header=BB5_155 Depth=1
	s_or_b64 exec, exec, s[22:23]
	global_load_dwordx2 v[27:28], v26, s[6:7] offset:40
	global_load_dwordx4 v[22:25], v26, s[6:7]
	v_readfirstlane_b32 s22, v2
	v_readfirstlane_b32 s23, v3
	s_mov_b64 s[24:25], exec
	s_waitcnt vmcnt(1)
	v_readfirstlane_b32 s26, v27
	v_readfirstlane_b32 s27, v28
	s_and_b64 s[26:27], s[22:23], s[26:27]
	s_mul_i32 s15, s27, 24
	s_mul_hi_u32 s28, s26, 24
	s_mul_i32 s29, s26, 24
	s_add_i32 s15, s28, s15
	v_mov_b32_e32 v2, s15
	s_waitcnt vmcnt(0)
	v_add_co_u32_e32 v27, vcc, s29, v22
	v_addc_co_u32_e32 v28, vcc, v23, v2, vcc
	s_and_saveexec_b64 s[28:29], s[4:5]
	s_cbranch_execz .LBB5_218
; %bb.217:                              ;   in Loop: Header=BB5_155 Depth=1
	v_mov_b32_e32 v2, s24
	v_mov_b32_e32 v3, s25
	global_store_dwordx4 v[27:28], v[2:5], off offset:8
.LBB5_218:                              ;   in Loop: Header=BB5_155 Depth=1
	s_or_b64 exec, exec, s[28:29]
	s_lshl_b64 s[24:25], s[26:27], 12
	v_mov_b32_e32 v2, s25
	v_add_co_u32_e32 v24, vcc, s24, v24
	v_addc_co_u32_e32 v29, vcc, v25, v2, vcc
	v_cmp_gt_u64_e64 vcc, s[18:19], 56
	v_or_b32_e32 v2, 2, v6
	s_lshl_b32 s15, s20, 2
	v_cndmask_b32_e32 v2, v2, v6, vcc
	s_add_i32 s15, s15, 28
	s_and_b32 s15, s15, 0x1e0
	v_and_b32_e32 v2, 0xffffff1f, v2
	v_or_b32_e32 v6, s15, v2
	v_readfirstlane_b32 s24, v24
	v_readfirstlane_b32 s25, v29
	s_nop 4
	global_store_dwordx4 v31, v[6:9], s[24:25]
	global_store_dwordx4 v31, v[10:13], s[24:25] offset:16
	global_store_dwordx4 v31, v[14:17], s[24:25] offset:32
	;; [unrolled: 1-line block ×3, first 2 shown]
	s_and_saveexec_b64 s[24:25], s[4:5]
	s_cbranch_execz .LBB5_226
; %bb.219:                              ;   in Loop: Header=BB5_155 Depth=1
	global_load_dwordx2 v[10:11], v26, s[6:7] offset:32 glc
	global_load_dwordx2 v[2:3], v26, s[6:7] offset:40
	v_mov_b32_e32 v8, s22
	v_mov_b32_e32 v9, s23
	s_waitcnt vmcnt(0)
	v_readfirstlane_b32 s26, v2
	v_readfirstlane_b32 s27, v3
	s_and_b64 s[26:27], s[26:27], s[22:23]
	s_mul_i32 s15, s27, 24
	s_mul_hi_u32 s27, s26, 24
	s_mul_i32 s26, s26, 24
	s_add_i32 s15, s27, s15
	v_mov_b32_e32 v3, s15
	v_add_co_u32_e32 v2, vcc, s26, v22
	v_addc_co_u32_e32 v3, vcc, v23, v3, vcc
	global_store_dwordx2 v[2:3], v[10:11], off
	s_waitcnt vmcnt(0)
	global_atomic_cmpswap_x2 v[8:9], v26, v[8:11], s[6:7] offset:32 glc
	s_waitcnt vmcnt(0)
	v_cmp_ne_u64_e32 vcc, v[8:9], v[10:11]
	s_and_saveexec_b64 s[26:27], vcc
	s_cbranch_execz .LBB5_222
; %bb.220:                              ;   in Loop: Header=BB5_155 Depth=1
	s_mov_b64 s[28:29], 0
.LBB5_221:                              ;   Parent Loop BB5_155 Depth=1
                                        ; =>  This Inner Loop Header: Depth=2
	s_sleep 1
	global_store_dwordx2 v[2:3], v[8:9], off
	v_mov_b32_e32 v6, s22
	v_mov_b32_e32 v7, s23
	s_waitcnt vmcnt(0)
	global_atomic_cmpswap_x2 v[6:7], v26, v[6:9], s[6:7] offset:32 glc
	s_waitcnt vmcnt(0)
	v_cmp_eq_u64_e32 vcc, v[6:7], v[8:9]
	v_mov_b32_e32 v9, v7
	s_or_b64 s[28:29], vcc, s[28:29]
	v_mov_b32_e32 v8, v6
	s_andn2_b64 exec, exec, s[28:29]
	s_cbranch_execnz .LBB5_221
.LBB5_222:                              ;   in Loop: Header=BB5_155 Depth=1
	s_or_b64 exec, exec, s[26:27]
	global_load_dwordx2 v[2:3], v26, s[6:7] offset:16
	s_mov_b64 s[28:29], exec
	v_mbcnt_lo_u32_b32 v6, s28, 0
	v_mbcnt_hi_u32_b32 v6, s29, v6
	v_cmp_eq_u32_e32 vcc, 0, v6
	s_and_saveexec_b64 s[26:27], vcc
	s_cbranch_execz .LBB5_224
; %bb.223:                              ;   in Loop: Header=BB5_155 Depth=1
	s_bcnt1_i32_b64 s15, s[28:29]
	v_mov_b32_e32 v25, s15
	s_waitcnt vmcnt(0)
	global_atomic_add_x2 v[2:3], v[25:26], off offset:8
.LBB5_224:                              ;   in Loop: Header=BB5_155 Depth=1
	s_or_b64 exec, exec, s[26:27]
	s_waitcnt vmcnt(0)
	global_load_dwordx2 v[6:7], v[2:3], off offset:16
	s_waitcnt vmcnt(0)
	v_cmp_eq_u64_e32 vcc, 0, v[6:7]
	s_cbranch_vccnz .LBB5_226
; %bb.225:                              ;   in Loop: Header=BB5_155 Depth=1
	global_load_dword v25, v[2:3], off offset:24
	s_waitcnt vmcnt(0)
	v_and_b32_e32 v2, 0xffffff, v25
	v_readfirstlane_b32 m0, v2
	global_store_dwordx2 v[6:7], v[25:26], off
	s_sendmsg sendmsg(MSG_INTERRUPT)
.LBB5_226:                              ;   in Loop: Header=BB5_155 Depth=1
	s_or_b64 exec, exec, s[24:25]
	v_add_co_u32_e32 v2, vcc, v24, v31
	v_addc_co_u32_e32 v3, vcc, 0, v29, vcc
	s_branch .LBB5_230
.LBB5_227:                              ;   in Loop: Header=BB5_230 Depth=2
	s_or_b64 exec, exec, s[24:25]
	v_readfirstlane_b32 s15, v6
	s_cmp_eq_u32 s15, 0
	s_cbranch_scc1 .LBB5_229
; %bb.228:                              ;   in Loop: Header=BB5_230 Depth=2
	s_sleep 1
	s_cbranch_execnz .LBB5_230
	s_branch .LBB5_232
.LBB5_229:                              ;   in Loop: Header=BB5_155 Depth=1
	s_branch .LBB5_232
.LBB5_230:                              ;   Parent Loop BB5_155 Depth=1
                                        ; =>  This Inner Loop Header: Depth=2
	v_mov_b32_e32 v6, 1
	s_and_saveexec_b64 s[24:25], s[4:5]
	s_cbranch_execz .LBB5_227
; %bb.231:                              ;   in Loop: Header=BB5_230 Depth=2
	global_load_dword v6, v[27:28], off offset:20 glc
	s_waitcnt vmcnt(0)
	buffer_wbinvl1_vol
	v_and_b32_e32 v6, 1, v6
	s_branch .LBB5_227
.LBB5_232:                              ;   in Loop: Header=BB5_155 Depth=1
	global_load_dwordx4 v[6:9], v[2:3], off
	s_and_saveexec_b64 s[24:25], s[4:5]
	s_cbranch_execz .LBB5_154
; %bb.233:                              ;   in Loop: Header=BB5_155 Depth=1
	global_load_dwordx2 v[2:3], v26, s[6:7] offset:40
	global_load_dwordx2 v[12:13], v26, s[6:7] offset:24 glc
	global_load_dwordx2 v[14:15], v26, s[6:7]
	s_waitcnt vmcnt(3)
	v_mov_b32_e32 v9, s23
	s_waitcnt vmcnt(2)
	v_add_co_u32_e32 v10, vcc, 1, v2
	v_addc_co_u32_e32 v11, vcc, 0, v3, vcc
	v_add_co_u32_e32 v8, vcc, s22, v10
	v_addc_co_u32_e32 v9, vcc, v11, v9, vcc
	v_cmp_eq_u64_e32 vcc, 0, v[8:9]
	v_cndmask_b32_e32 v9, v9, v11, vcc
	v_cndmask_b32_e32 v8, v8, v10, vcc
	v_and_b32_e32 v3, v9, v3
	v_and_b32_e32 v2, v8, v2
	v_mul_lo_u32 v3, v3, 24
	v_mul_hi_u32 v11, v2, 24
	v_mul_lo_u32 v2, v2, 24
	s_waitcnt vmcnt(1)
	v_mov_b32_e32 v10, v12
	v_add_u32_e32 v3, v11, v3
	s_waitcnt vmcnt(0)
	v_add_co_u32_e32 v2, vcc, v14, v2
	v_addc_co_u32_e32 v3, vcc, v15, v3, vcc
	global_store_dwordx2 v[2:3], v[12:13], off
	v_mov_b32_e32 v11, v13
	s_waitcnt vmcnt(0)
	global_atomic_cmpswap_x2 v[10:11], v26, v[8:11], s[6:7] offset:24 glc
	s_waitcnt vmcnt(0)
	v_cmp_ne_u64_e32 vcc, v[10:11], v[12:13]
	s_and_b64 exec, exec, vcc
	s_cbranch_execz .LBB5_154
; %bb.234:                              ;   in Loop: Header=BB5_155 Depth=1
	s_mov_b64 s[4:5], 0
.LBB5_235:                              ;   Parent Loop BB5_155 Depth=1
                                        ; =>  This Inner Loop Header: Depth=2
	s_sleep 1
	global_store_dwordx2 v[2:3], v[10:11], off
	s_waitcnt vmcnt(0)
	global_atomic_cmpswap_x2 v[12:13], v26, v[8:11], s[6:7] offset:24 glc
	s_waitcnt vmcnt(0)
	v_cmp_eq_u64_e32 vcc, v[12:13], v[10:11]
	v_mov_b32_e32 v10, v12
	s_or_b64 s[4:5], vcc, s[4:5]
	v_mov_b32_e32 v11, v13
	s_andn2_b64 exec, exec, s[4:5]
	s_cbranch_execnz .LBB5_235
	s_branch .LBB5_154
.LBB5_236:
	s_branch .LBB5_264
.LBB5_237:
	s_cbranch_execz .LBB5_264
; %bb.238:
	v_readfirstlane_b32 s4, v32
	s_waitcnt vmcnt(0)
	v_mov_b32_e32 v8, 0
	v_mov_b32_e32 v9, 0
	v_cmp_eq_u32_e64 s[4:5], s4, v32
	s_and_saveexec_b64 s[16:17], s[4:5]
	s_cbranch_execz .LBB5_244
; %bb.239:
	v_mov_b32_e32 v2, 0
	global_load_dwordx2 v[5:6], v2, s[6:7] offset:24 glc
	s_waitcnt vmcnt(0)
	buffer_wbinvl1_vol
	global_load_dwordx2 v[3:4], v2, s[6:7] offset:40
	global_load_dwordx2 v[7:8], v2, s[6:7]
	s_waitcnt vmcnt(1)
	v_and_b32_e32 v3, v3, v5
	v_and_b32_e32 v4, v4, v6
	v_mul_lo_u32 v4, v4, 24
	v_mul_hi_u32 v9, v3, 24
	v_mul_lo_u32 v3, v3, 24
	v_add_u32_e32 v4, v9, v4
	s_waitcnt vmcnt(0)
	v_add_co_u32_e32 v3, vcc, v7, v3
	v_addc_co_u32_e32 v4, vcc, v8, v4, vcc
	global_load_dwordx2 v[3:4], v[3:4], off glc
	s_waitcnt vmcnt(0)
	global_atomic_cmpswap_x2 v[8:9], v2, v[3:6], s[6:7] offset:24 glc
	s_waitcnt vmcnt(0)
	buffer_wbinvl1_vol
	v_cmp_ne_u64_e32 vcc, v[8:9], v[5:6]
	s_and_saveexec_b64 s[18:19], vcc
	s_cbranch_execz .LBB5_243
; %bb.240:
	s_mov_b64 s[20:21], 0
.LBB5_241:                              ; =>This Inner Loop Header: Depth=1
	s_sleep 1
	global_load_dwordx2 v[3:4], v2, s[6:7] offset:40
	global_load_dwordx2 v[10:11], v2, s[6:7]
	v_mov_b32_e32 v5, v8
	v_mov_b32_e32 v6, v9
	s_waitcnt vmcnt(1)
	v_and_b32_e32 v3, v3, v5
	s_waitcnt vmcnt(0)
	v_mad_u64_u32 v[7:8], s[22:23], v3, 24, v[10:11]
	v_and_b32_e32 v4, v4, v6
	v_mov_b32_e32 v3, v8
	v_mad_u64_u32 v[3:4], s[22:23], v4, 24, v[3:4]
	v_mov_b32_e32 v8, v3
	global_load_dwordx2 v[3:4], v[7:8], off glc
	s_waitcnt vmcnt(0)
	global_atomic_cmpswap_x2 v[8:9], v2, v[3:6], s[6:7] offset:24 glc
	s_waitcnt vmcnt(0)
	buffer_wbinvl1_vol
	v_cmp_eq_u64_e32 vcc, v[8:9], v[5:6]
	s_or_b64 s[20:21], vcc, s[20:21]
	s_andn2_b64 exec, exec, s[20:21]
	s_cbranch_execnz .LBB5_241
; %bb.242:
	s_or_b64 exec, exec, s[20:21]
.LBB5_243:
	s_or_b64 exec, exec, s[18:19]
.LBB5_244:
	s_or_b64 exec, exec, s[16:17]
	v_mov_b32_e32 v2, 0
	global_load_dwordx2 v[10:11], v2, s[6:7] offset:40
	global_load_dwordx4 v[4:7], v2, s[6:7]
	v_readfirstlane_b32 s16, v8
	v_readfirstlane_b32 s17, v9
	s_mov_b64 s[18:19], exec
	s_waitcnt vmcnt(1)
	v_readfirstlane_b32 s20, v10
	v_readfirstlane_b32 s21, v11
	s_and_b64 s[20:21], s[16:17], s[20:21]
	s_mul_i32 s15, s21, 24
	s_mul_hi_u32 s22, s20, 24
	s_mul_i32 s23, s20, 24
	s_add_i32 s15, s22, s15
	v_mov_b32_e32 v3, s15
	s_waitcnt vmcnt(0)
	v_add_co_u32_e32 v8, vcc, s23, v4
	v_addc_co_u32_e32 v9, vcc, v5, v3, vcc
	s_and_saveexec_b64 s[22:23], s[4:5]
	s_cbranch_execz .LBB5_246
; %bb.245:
	v_mov_b32_e32 v10, s18
	v_mov_b32_e32 v11, s19
	;; [unrolled: 1-line block ×4, first 2 shown]
	global_store_dwordx4 v[8:9], v[10:13], off offset:8
.LBB5_246:
	s_or_b64 exec, exec, s[22:23]
	s_lshl_b64 s[18:19], s[20:21], 12
	v_mov_b32_e32 v3, s19
	v_add_co_u32_e32 v6, vcc, s18, v6
	v_addc_co_u32_e32 v7, vcc, v7, v3, vcc
	s_movk_i32 s15, 0xff1d
	v_and_or_b32 v0, v0, s15, 34
	s_mov_b32 s20, 0
	v_mov_b32_e32 v3, v2
	v_readfirstlane_b32 s18, v6
	v_readfirstlane_b32 s19, v7
	s_mov_b32 s21, s20
	s_mov_b32 s22, s20
	;; [unrolled: 1-line block ×3, first 2 shown]
	s_nop 1
	global_store_dwordx4 v31, v[0:3], s[18:19]
	s_nop 0
	v_mov_b32_e32 v0, s20
	v_mov_b32_e32 v1, s21
	;; [unrolled: 1-line block ×4, first 2 shown]
	global_store_dwordx4 v31, v[0:3], s[18:19] offset:16
	global_store_dwordx4 v31, v[0:3], s[18:19] offset:32
	;; [unrolled: 1-line block ×3, first 2 shown]
	s_and_saveexec_b64 s[18:19], s[4:5]
	s_cbranch_execz .LBB5_254
; %bb.247:
	v_mov_b32_e32 v6, 0
	global_load_dwordx2 v[12:13], v6, s[6:7] offset:32 glc
	global_load_dwordx2 v[0:1], v6, s[6:7] offset:40
	v_mov_b32_e32 v10, s16
	v_mov_b32_e32 v11, s17
	s_waitcnt vmcnt(0)
	v_readfirstlane_b32 s20, v0
	v_readfirstlane_b32 s21, v1
	s_and_b64 s[20:21], s[20:21], s[16:17]
	s_mul_i32 s15, s21, 24
	s_mul_hi_u32 s21, s20, 24
	s_mul_i32 s20, s20, 24
	s_add_i32 s15, s21, s15
	v_mov_b32_e32 v0, s15
	v_add_co_u32_e32 v4, vcc, s20, v4
	v_addc_co_u32_e32 v5, vcc, v5, v0, vcc
	global_store_dwordx2 v[4:5], v[12:13], off
	s_waitcnt vmcnt(0)
	global_atomic_cmpswap_x2 v[2:3], v6, v[10:13], s[6:7] offset:32 glc
	s_waitcnt vmcnt(0)
	v_cmp_ne_u64_e32 vcc, v[2:3], v[12:13]
	s_and_saveexec_b64 s[20:21], vcc
	s_cbranch_execz .LBB5_250
; %bb.248:
	s_mov_b64 s[22:23], 0
.LBB5_249:                              ; =>This Inner Loop Header: Depth=1
	s_sleep 1
	global_store_dwordx2 v[4:5], v[2:3], off
	v_mov_b32_e32 v0, s16
	v_mov_b32_e32 v1, s17
	s_waitcnt vmcnt(0)
	global_atomic_cmpswap_x2 v[0:1], v6, v[0:3], s[6:7] offset:32 glc
	s_waitcnt vmcnt(0)
	v_cmp_eq_u64_e32 vcc, v[0:1], v[2:3]
	v_mov_b32_e32 v3, v1
	s_or_b64 s[22:23], vcc, s[22:23]
	v_mov_b32_e32 v2, v0
	s_andn2_b64 exec, exec, s[22:23]
	s_cbranch_execnz .LBB5_249
.LBB5_250:
	s_or_b64 exec, exec, s[20:21]
	v_mov_b32_e32 v3, 0
	global_load_dwordx2 v[0:1], v3, s[6:7] offset:16
	s_mov_b64 s[20:21], exec
	v_mbcnt_lo_u32_b32 v2, s20, 0
	v_mbcnt_hi_u32_b32 v2, s21, v2
	v_cmp_eq_u32_e32 vcc, 0, v2
	s_and_saveexec_b64 s[22:23], vcc
	s_cbranch_execz .LBB5_252
; %bb.251:
	s_bcnt1_i32_b64 s15, s[20:21]
	v_mov_b32_e32 v2, s15
	s_waitcnt vmcnt(0)
	global_atomic_add_x2 v[0:1], v[2:3], off offset:8
.LBB5_252:
	s_or_b64 exec, exec, s[22:23]
	s_waitcnt vmcnt(0)
	global_load_dwordx2 v[2:3], v[0:1], off offset:16
	s_waitcnt vmcnt(0)
	v_cmp_eq_u64_e32 vcc, 0, v[2:3]
	s_cbranch_vccnz .LBB5_254
; %bb.253:
	global_load_dword v0, v[0:1], off offset:24
	v_mov_b32_e32 v1, 0
	s_waitcnt vmcnt(0)
	global_store_dwordx2 v[2:3], v[0:1], off
	v_and_b32_e32 v0, 0xffffff, v0
	v_readfirstlane_b32 m0, v0
	s_sendmsg sendmsg(MSG_INTERRUPT)
.LBB5_254:
	s_or_b64 exec, exec, s[18:19]
	s_branch .LBB5_258
.LBB5_255:                              ;   in Loop: Header=BB5_258 Depth=1
	s_or_b64 exec, exec, s[18:19]
	v_readfirstlane_b32 s15, v0
	s_cmp_eq_u32 s15, 0
	s_cbranch_scc1 .LBB5_257
; %bb.256:                              ;   in Loop: Header=BB5_258 Depth=1
	s_sleep 1
	s_cbranch_execnz .LBB5_258
	s_branch .LBB5_260
.LBB5_257:
	s_branch .LBB5_260
.LBB5_258:                              ; =>This Inner Loop Header: Depth=1
	v_mov_b32_e32 v0, 1
	s_and_saveexec_b64 s[18:19], s[4:5]
	s_cbranch_execz .LBB5_255
; %bb.259:                              ;   in Loop: Header=BB5_258 Depth=1
	global_load_dword v0, v[8:9], off offset:20 glc
	s_waitcnt vmcnt(0)
	buffer_wbinvl1_vol
	v_and_b32_e32 v0, 1, v0
	s_branch .LBB5_255
.LBB5_260:
	s_and_saveexec_b64 s[18:19], s[4:5]
	s_cbranch_execz .LBB5_263
; %bb.261:
	v_mov_b32_e32 v6, 0
	global_load_dwordx2 v[2:3], v6, s[6:7] offset:40
	global_load_dwordx2 v[7:8], v6, s[6:7] offset:24 glc
	global_load_dwordx2 v[4:5], v6, s[6:7]
	v_mov_b32_e32 v1, s17
	s_mov_b64 s[4:5], 0
	s_waitcnt vmcnt(2)
	v_add_co_u32_e32 v9, vcc, 1, v2
	v_addc_co_u32_e32 v10, vcc, 0, v3, vcc
	v_add_co_u32_e32 v0, vcc, s16, v9
	v_addc_co_u32_e32 v1, vcc, v10, v1, vcc
	v_cmp_eq_u64_e32 vcc, 0, v[0:1]
	v_cndmask_b32_e32 v1, v1, v10, vcc
	v_cndmask_b32_e32 v0, v0, v9, vcc
	v_and_b32_e32 v3, v1, v3
	v_and_b32_e32 v2, v0, v2
	v_mul_lo_u32 v3, v3, 24
	v_mul_hi_u32 v9, v2, 24
	v_mul_lo_u32 v10, v2, 24
	s_waitcnt vmcnt(1)
	v_mov_b32_e32 v2, v7
	v_add_u32_e32 v3, v9, v3
	s_waitcnt vmcnt(0)
	v_add_co_u32_e32 v4, vcc, v4, v10
	v_addc_co_u32_e32 v5, vcc, v5, v3, vcc
	global_store_dwordx2 v[4:5], v[7:8], off
	v_mov_b32_e32 v3, v8
	s_waitcnt vmcnt(0)
	global_atomic_cmpswap_x2 v[2:3], v6, v[0:3], s[6:7] offset:24 glc
	s_waitcnt vmcnt(0)
	v_cmp_ne_u64_e32 vcc, v[2:3], v[7:8]
	s_and_b64 exec, exec, vcc
	s_cbranch_execz .LBB5_263
.LBB5_262:                              ; =>This Inner Loop Header: Depth=1
	s_sleep 1
	global_store_dwordx2 v[4:5], v[2:3], off
	s_waitcnt vmcnt(0)
	global_atomic_cmpswap_x2 v[7:8], v6, v[0:3], s[6:7] offset:24 glc
	s_waitcnt vmcnt(0)
	v_cmp_eq_u64_e32 vcc, v[7:8], v[2:3]
	v_mov_b32_e32 v2, v7
	s_or_b64 s[4:5], vcc, s[4:5]
	v_mov_b32_e32 v3, v8
	s_andn2_b64 exec, exec, s[4:5]
	s_cbranch_execnz .LBB5_262
.LBB5_263:
	s_or_b64 exec, exec, s[18:19]
.LBB5_264:
	v_readfirstlane_b32 s4, v32
	s_waitcnt vmcnt(0)
	v_mov_b32_e32 v5, 0
	v_mov_b32_e32 v6, 0
	v_cmp_eq_u32_e64 s[4:5], s4, v32
	s_and_saveexec_b64 s[16:17], s[4:5]
	s_cbranch_execz .LBB5_270
; %bb.265:
	v_mov_b32_e32 v0, 0
	global_load_dwordx2 v[3:4], v0, s[6:7] offset:24 glc
	s_waitcnt vmcnt(0)
	buffer_wbinvl1_vol
	global_load_dwordx2 v[1:2], v0, s[6:7] offset:40
	global_load_dwordx2 v[5:6], v0, s[6:7]
	s_waitcnt vmcnt(1)
	v_and_b32_e32 v1, v1, v3
	v_and_b32_e32 v2, v2, v4
	v_mul_lo_u32 v2, v2, 24
	v_mul_hi_u32 v7, v1, 24
	v_mul_lo_u32 v1, v1, 24
	v_add_u32_e32 v2, v7, v2
	s_waitcnt vmcnt(0)
	v_add_co_u32_e32 v1, vcc, v5, v1
	v_addc_co_u32_e32 v2, vcc, v6, v2, vcc
	global_load_dwordx2 v[1:2], v[1:2], off glc
	s_waitcnt vmcnt(0)
	global_atomic_cmpswap_x2 v[5:6], v0, v[1:4], s[6:7] offset:24 glc
	s_waitcnt vmcnt(0)
	buffer_wbinvl1_vol
	v_cmp_ne_u64_e32 vcc, v[5:6], v[3:4]
	s_and_saveexec_b64 s[18:19], vcc
	s_cbranch_execz .LBB5_269
; %bb.266:
	s_mov_b64 s[20:21], 0
.LBB5_267:                              ; =>This Inner Loop Header: Depth=1
	s_sleep 1
	global_load_dwordx2 v[1:2], v0, s[6:7] offset:40
	global_load_dwordx2 v[7:8], v0, s[6:7]
	v_mov_b32_e32 v3, v5
	v_mov_b32_e32 v4, v6
	s_waitcnt vmcnt(1)
	v_and_b32_e32 v1, v1, v3
	s_waitcnt vmcnt(0)
	v_mad_u64_u32 v[5:6], s[22:23], v1, 24, v[7:8]
	v_and_b32_e32 v2, v2, v4
	v_mov_b32_e32 v1, v6
	v_mad_u64_u32 v[1:2], s[22:23], v2, 24, v[1:2]
	v_mov_b32_e32 v6, v1
	global_load_dwordx2 v[1:2], v[5:6], off glc
	s_waitcnt vmcnt(0)
	global_atomic_cmpswap_x2 v[5:6], v0, v[1:4], s[6:7] offset:24 glc
	s_waitcnt vmcnt(0)
	buffer_wbinvl1_vol
	v_cmp_eq_u64_e32 vcc, v[5:6], v[3:4]
	s_or_b64 s[20:21], vcc, s[20:21]
	s_andn2_b64 exec, exec, s[20:21]
	s_cbranch_execnz .LBB5_267
; %bb.268:
	s_or_b64 exec, exec, s[20:21]
.LBB5_269:
	s_or_b64 exec, exec, s[18:19]
.LBB5_270:
	s_or_b64 exec, exec, s[16:17]
	v_mov_b32_e32 v4, 0
	global_load_dwordx2 v[7:8], v4, s[6:7] offset:40
	global_load_dwordx4 v[0:3], v4, s[6:7]
	v_readfirstlane_b32 s16, v5
	v_readfirstlane_b32 s17, v6
	s_mov_b64 s[18:19], exec
	s_waitcnt vmcnt(1)
	v_readfirstlane_b32 s20, v7
	v_readfirstlane_b32 s21, v8
	s_and_b64 s[20:21], s[16:17], s[20:21]
	s_mul_i32 s15, s21, 24
	s_mul_hi_u32 s22, s20, 24
	s_mul_i32 s23, s20, 24
	s_add_i32 s15, s22, s15
	v_mov_b32_e32 v5, s15
	s_waitcnt vmcnt(0)
	v_add_co_u32_e32 v7, vcc, s23, v0
	v_addc_co_u32_e32 v8, vcc, v1, v5, vcc
	s_and_saveexec_b64 s[22:23], s[4:5]
	s_cbranch_execz .LBB5_272
; %bb.271:
	v_mov_b32_e32 v9, s18
	v_mov_b32_e32 v10, s19
	;; [unrolled: 1-line block ×4, first 2 shown]
	global_store_dwordx4 v[7:8], v[9:12], off offset:8
.LBB5_272:
	s_or_b64 exec, exec, s[22:23]
	s_lshl_b64 s[18:19], s[20:21], 12
	v_mov_b32_e32 v5, s19
	v_add_co_u32_e32 v2, vcc, s18, v2
	v_addc_co_u32_e32 v11, vcc, v3, v5, vcc
	s_mov_b32 s20, 0
	v_mov_b32_e32 v3, 33
	v_mov_b32_e32 v5, v4
	;; [unrolled: 1-line block ×3, first 2 shown]
	v_readfirstlane_b32 s18, v2
	v_readfirstlane_b32 s19, v11
	v_add_co_u32_e32 v9, vcc, v2, v31
	s_mov_b32 s21, s20
	s_mov_b32 s22, s20
	;; [unrolled: 1-line block ×3, first 2 shown]
	s_nop 0
	global_store_dwordx4 v31, v[3:6], s[18:19]
	v_mov_b32_e32 v2, s20
	v_addc_co_u32_e32 v10, vcc, 0, v11, vcc
	v_mov_b32_e32 v3, s21
	v_mov_b32_e32 v4, s22
	;; [unrolled: 1-line block ×3, first 2 shown]
	global_store_dwordx4 v31, v[2:5], s[18:19] offset:16
	global_store_dwordx4 v31, v[2:5], s[18:19] offset:32
	;; [unrolled: 1-line block ×3, first 2 shown]
	s_and_saveexec_b64 s[18:19], s[4:5]
	s_cbranch_execz .LBB5_280
; %bb.273:
	v_mov_b32_e32 v6, 0
	global_load_dwordx2 v[13:14], v6, s[6:7] offset:32 glc
	global_load_dwordx2 v[2:3], v6, s[6:7] offset:40
	v_mov_b32_e32 v11, s16
	v_mov_b32_e32 v12, s17
	s_waitcnt vmcnt(0)
	v_readfirstlane_b32 s20, v2
	v_readfirstlane_b32 s21, v3
	s_and_b64 s[20:21], s[20:21], s[16:17]
	s_mul_i32 s15, s21, 24
	s_mul_hi_u32 s21, s20, 24
	s_mul_i32 s20, s20, 24
	s_add_i32 s15, s21, s15
	v_mov_b32_e32 v2, s15
	v_add_co_u32_e32 v4, vcc, s20, v0
	v_addc_co_u32_e32 v5, vcc, v1, v2, vcc
	global_store_dwordx2 v[4:5], v[13:14], off
	s_waitcnt vmcnt(0)
	global_atomic_cmpswap_x2 v[2:3], v6, v[11:14], s[6:7] offset:32 glc
	s_waitcnt vmcnt(0)
	v_cmp_ne_u64_e32 vcc, v[2:3], v[13:14]
	s_and_saveexec_b64 s[20:21], vcc
	s_cbranch_execz .LBB5_276
; %bb.274:
	s_mov_b64 s[22:23], 0
.LBB5_275:                              ; =>This Inner Loop Header: Depth=1
	s_sleep 1
	global_store_dwordx2 v[4:5], v[2:3], off
	v_mov_b32_e32 v0, s16
	v_mov_b32_e32 v1, s17
	s_waitcnt vmcnt(0)
	global_atomic_cmpswap_x2 v[0:1], v6, v[0:3], s[6:7] offset:32 glc
	s_waitcnt vmcnt(0)
	v_cmp_eq_u64_e32 vcc, v[0:1], v[2:3]
	v_mov_b32_e32 v3, v1
	s_or_b64 s[22:23], vcc, s[22:23]
	v_mov_b32_e32 v2, v0
	s_andn2_b64 exec, exec, s[22:23]
	s_cbranch_execnz .LBB5_275
.LBB5_276:
	s_or_b64 exec, exec, s[20:21]
	v_mov_b32_e32 v3, 0
	global_load_dwordx2 v[0:1], v3, s[6:7] offset:16
	s_mov_b64 s[20:21], exec
	v_mbcnt_lo_u32_b32 v2, s20, 0
	v_mbcnt_hi_u32_b32 v2, s21, v2
	v_cmp_eq_u32_e32 vcc, 0, v2
	s_and_saveexec_b64 s[22:23], vcc
	s_cbranch_execz .LBB5_278
; %bb.277:
	s_bcnt1_i32_b64 s15, s[20:21]
	v_mov_b32_e32 v2, s15
	s_waitcnt vmcnt(0)
	global_atomic_add_x2 v[0:1], v[2:3], off offset:8
.LBB5_278:
	s_or_b64 exec, exec, s[22:23]
	s_waitcnt vmcnt(0)
	global_load_dwordx2 v[2:3], v[0:1], off offset:16
	s_waitcnt vmcnt(0)
	v_cmp_eq_u64_e32 vcc, 0, v[2:3]
	s_cbranch_vccnz .LBB5_280
; %bb.279:
	global_load_dword v0, v[0:1], off offset:24
	v_mov_b32_e32 v1, 0
	s_waitcnt vmcnt(0)
	global_store_dwordx2 v[2:3], v[0:1], off
	v_and_b32_e32 v0, 0xffffff, v0
	v_readfirstlane_b32 m0, v0
	s_sendmsg sendmsg(MSG_INTERRUPT)
.LBB5_280:
	s_or_b64 exec, exec, s[18:19]
	s_branch .LBB5_284
.LBB5_281:                              ;   in Loop: Header=BB5_284 Depth=1
	s_or_b64 exec, exec, s[18:19]
	v_readfirstlane_b32 s15, v0
	s_cmp_eq_u32 s15, 0
	s_cbranch_scc1 .LBB5_283
; %bb.282:                              ;   in Loop: Header=BB5_284 Depth=1
	s_sleep 1
	s_cbranch_execnz .LBB5_284
	s_branch .LBB5_286
.LBB5_283:
	s_branch .LBB5_286
.LBB5_284:                              ; =>This Inner Loop Header: Depth=1
	v_mov_b32_e32 v0, 1
	s_and_saveexec_b64 s[18:19], s[4:5]
	s_cbranch_execz .LBB5_281
; %bb.285:                              ;   in Loop: Header=BB5_284 Depth=1
	global_load_dword v0, v[7:8], off offset:20 glc
	s_waitcnt vmcnt(0)
	buffer_wbinvl1_vol
	v_and_b32_e32 v0, 1, v0
	s_branch .LBB5_281
.LBB5_286:
	global_load_dwordx2 v[0:1], v[9:10], off
	s_and_saveexec_b64 s[18:19], s[4:5]
	s_cbranch_execz .LBB5_289
; %bb.287:
	v_mov_b32_e32 v8, 0
	global_load_dwordx2 v[4:5], v8, s[6:7] offset:40
	global_load_dwordx2 v[9:10], v8, s[6:7] offset:24 glc
	global_load_dwordx2 v[6:7], v8, s[6:7]
	v_mov_b32_e32 v3, s17
	s_mov_b64 s[4:5], 0
	s_waitcnt vmcnt(2)
	v_add_co_u32_e32 v11, vcc, 1, v4
	v_addc_co_u32_e32 v12, vcc, 0, v5, vcc
	v_add_co_u32_e32 v2, vcc, s16, v11
	v_addc_co_u32_e32 v3, vcc, v12, v3, vcc
	v_cmp_eq_u64_e32 vcc, 0, v[2:3]
	v_cndmask_b32_e32 v3, v3, v12, vcc
	v_cndmask_b32_e32 v2, v2, v11, vcc
	v_and_b32_e32 v5, v3, v5
	v_and_b32_e32 v4, v2, v4
	v_mul_lo_u32 v5, v5, 24
	v_mul_hi_u32 v11, v4, 24
	v_mul_lo_u32 v12, v4, 24
	s_waitcnt vmcnt(1)
	v_mov_b32_e32 v4, v9
	v_add_u32_e32 v5, v11, v5
	s_waitcnt vmcnt(0)
	v_add_co_u32_e32 v6, vcc, v6, v12
	v_addc_co_u32_e32 v7, vcc, v7, v5, vcc
	global_store_dwordx2 v[6:7], v[9:10], off
	v_mov_b32_e32 v5, v10
	s_waitcnt vmcnt(0)
	global_atomic_cmpswap_x2 v[4:5], v8, v[2:5], s[6:7] offset:24 glc
	s_waitcnt vmcnt(0)
	v_cmp_ne_u64_e32 vcc, v[4:5], v[9:10]
	s_and_b64 exec, exec, vcc
	s_cbranch_execz .LBB5_289
.LBB5_288:                              ; =>This Inner Loop Header: Depth=1
	s_sleep 1
	global_store_dwordx2 v[6:7], v[4:5], off
	s_waitcnt vmcnt(0)
	global_atomic_cmpswap_x2 v[9:10], v8, v[2:5], s[6:7] offset:24 glc
	s_waitcnt vmcnt(0)
	v_cmp_eq_u64_e32 vcc, v[9:10], v[4:5]
	v_mov_b32_e32 v4, v9
	s_or_b64 s[4:5], vcc, s[4:5]
	v_mov_b32_e32 v5, v10
	s_andn2_b64 exec, exec, s[4:5]
	s_cbranch_execnz .LBB5_288
.LBB5_289:
	s_or_b64 exec, exec, s[18:19]
	s_getpc_b64 s[18:19]
	s_add_u32 s18, s18, .str.6@rel32@lo+4
	s_addc_u32 s19, s19, .str.6@rel32@hi+12
	s_cmp_lg_u64 s[18:19], 0
	s_cselect_b64 s[16:17], -1, 0
	s_and_b64 vcc, exec, s[16:17]
	s_cbranch_vccz .LBB5_374
; %bb.290:
	s_waitcnt vmcnt(0)
	v_and_b32_e32 v33, 2, v0
	v_mov_b32_e32 v28, 0
	v_and_b32_e32 v2, -3, v0
	v_mov_b32_e32 v3, v1
	s_mov_b64 s[20:21], 3
	v_mov_b32_e32 v6, 2
	v_mov_b32_e32 v7, 1
	s_branch .LBB5_292
.LBB5_291:                              ;   in Loop: Header=BB5_292 Depth=1
	s_or_b64 exec, exec, s[26:27]
	s_sub_u32 s20, s20, s22
	s_subb_u32 s21, s21, s23
	s_add_u32 s18, s18, s22
	s_addc_u32 s19, s19, s23
	s_cmp_lg_u64 s[20:21], 0
	s_cbranch_scc0 .LBB5_373
.LBB5_292:                              ; =>This Loop Header: Depth=1
                                        ;     Child Loop BB5_295 Depth 2
                                        ;     Child Loop BB5_302 Depth 2
	;; [unrolled: 1-line block ×11, first 2 shown]
	v_cmp_lt_u64_e64 s[4:5], s[20:21], 56
	v_cmp_gt_u64_e64 s[24:25], s[20:21], 7
	s_and_b64 s[4:5], s[4:5], exec
	s_cselect_b32 s23, s21, 0
	s_cselect_b32 s22, s20, 56
	s_and_b64 vcc, exec, s[24:25]
	s_cbranch_vccnz .LBB5_297
; %bb.293:                              ;   in Loop: Header=BB5_292 Depth=1
	v_mov_b32_e32 v10, 0
	s_cmp_eq_u64 s[20:21], 0
	v_mov_b32_e32 v11, 0
	s_mov_b64 s[4:5], 0
	s_cbranch_scc1 .LBB5_296
; %bb.294:                              ;   in Loop: Header=BB5_292 Depth=1
	v_mov_b32_e32 v10, 0
	s_lshl_b64 s[24:25], s[22:23], 3
	s_mov_b64 s[26:27], 0
	v_mov_b32_e32 v11, 0
	s_mov_b64 s[28:29], s[18:19]
.LBB5_295:                              ;   Parent Loop BB5_292 Depth=1
                                        ; =>  This Inner Loop Header: Depth=2
	global_load_ubyte v4, v28, s[28:29]
	s_waitcnt vmcnt(0)
	v_and_b32_e32 v27, 0xffff, v4
	v_lshlrev_b64 v[4:5], s26, v[27:28]
	s_add_u32 s26, s26, 8
	s_addc_u32 s27, s27, 0
	s_add_u32 s28, s28, 1
	s_addc_u32 s29, s29, 0
	v_or_b32_e32 v10, v4, v10
	s_cmp_lg_u32 s24, s26
	v_or_b32_e32 v11, v5, v11
	s_cbranch_scc1 .LBB5_295
.LBB5_296:                              ;   in Loop: Header=BB5_292 Depth=1
	s_mov_b32 s15, 0
	s_andn2_b64 vcc, exec, s[4:5]
	s_mov_b64 s[4:5], s[18:19]
	s_cbranch_vccz .LBB5_298
	s_branch .LBB5_299
.LBB5_297:                              ;   in Loop: Header=BB5_292 Depth=1
                                        ; implicit-def: $vgpr10_vgpr11
                                        ; implicit-def: $sgpr15
	s_mov_b64 s[4:5], s[18:19]
.LBB5_298:                              ;   in Loop: Header=BB5_292 Depth=1
	global_load_dwordx2 v[10:11], v28, s[18:19]
	s_add_i32 s15, s22, -8
	s_add_u32 s4, s18, 8
	s_addc_u32 s5, s19, 0
.LBB5_299:                              ;   in Loop: Header=BB5_292 Depth=1
	s_cmp_gt_u32 s15, 7
	s_cbranch_scc1 .LBB5_303
; %bb.300:                              ;   in Loop: Header=BB5_292 Depth=1
	s_cmp_eq_u32 s15, 0
	s_cbranch_scc1 .LBB5_304
; %bb.301:                              ;   in Loop: Header=BB5_292 Depth=1
	v_mov_b32_e32 v12, 0
	s_mov_b64 s[24:25], 0
	v_mov_b32_e32 v13, 0
	s_mov_b64 s[26:27], 0
.LBB5_302:                              ;   Parent Loop BB5_292 Depth=1
                                        ; =>  This Inner Loop Header: Depth=2
	s_add_u32 s28, s4, s26
	s_addc_u32 s29, s5, s27
	global_load_ubyte v4, v28, s[28:29]
	s_add_u32 s26, s26, 1
	s_addc_u32 s27, s27, 0
	s_waitcnt vmcnt(0)
	v_and_b32_e32 v27, 0xffff, v4
	v_lshlrev_b64 v[4:5], s24, v[27:28]
	s_add_u32 s24, s24, 8
	s_addc_u32 s25, s25, 0
	v_or_b32_e32 v12, v4, v12
	s_cmp_lg_u32 s15, s26
	v_or_b32_e32 v13, v5, v13
	s_cbranch_scc1 .LBB5_302
	s_branch .LBB5_305
.LBB5_303:                              ;   in Loop: Header=BB5_292 Depth=1
                                        ; implicit-def: $vgpr12_vgpr13
                                        ; implicit-def: $sgpr28
	s_branch .LBB5_306
.LBB5_304:                              ;   in Loop: Header=BB5_292 Depth=1
	v_mov_b32_e32 v12, 0
	v_mov_b32_e32 v13, 0
.LBB5_305:                              ;   in Loop: Header=BB5_292 Depth=1
	s_mov_b32 s28, 0
	s_cbranch_execnz .LBB5_307
.LBB5_306:                              ;   in Loop: Header=BB5_292 Depth=1
	global_load_dwordx2 v[12:13], v28, s[4:5]
	s_add_i32 s28, s15, -8
	s_add_u32 s4, s4, 8
	s_addc_u32 s5, s5, 0
.LBB5_307:                              ;   in Loop: Header=BB5_292 Depth=1
	s_cmp_gt_u32 s28, 7
	s_cbranch_scc1 .LBB5_311
; %bb.308:                              ;   in Loop: Header=BB5_292 Depth=1
	s_cmp_eq_u32 s28, 0
	s_cbranch_scc1 .LBB5_312
; %bb.309:                              ;   in Loop: Header=BB5_292 Depth=1
	v_mov_b32_e32 v14, 0
	s_mov_b64 s[24:25], 0
	v_mov_b32_e32 v15, 0
	s_mov_b64 s[26:27], 0
.LBB5_310:                              ;   Parent Loop BB5_292 Depth=1
                                        ; =>  This Inner Loop Header: Depth=2
	s_add_u32 vcc_lo, s4, s26
	s_addc_u32 vcc_hi, s5, s27
	global_load_ubyte v4, v28, vcc
	s_add_u32 s26, s26, 1
	s_addc_u32 s27, s27, 0
	s_waitcnt vmcnt(0)
	v_and_b32_e32 v27, 0xffff, v4
	v_lshlrev_b64 v[4:5], s24, v[27:28]
	s_add_u32 s24, s24, 8
	s_addc_u32 s25, s25, 0
	v_or_b32_e32 v14, v4, v14
	s_cmp_lg_u32 s28, s26
	v_or_b32_e32 v15, v5, v15
	s_cbranch_scc1 .LBB5_310
	s_branch .LBB5_313
.LBB5_311:                              ;   in Loop: Header=BB5_292 Depth=1
                                        ; implicit-def: $sgpr15
	s_branch .LBB5_314
.LBB5_312:                              ;   in Loop: Header=BB5_292 Depth=1
	v_mov_b32_e32 v14, 0
	v_mov_b32_e32 v15, 0
.LBB5_313:                              ;   in Loop: Header=BB5_292 Depth=1
	s_mov_b32 s15, 0
	s_cbranch_execnz .LBB5_315
.LBB5_314:                              ;   in Loop: Header=BB5_292 Depth=1
	global_load_dwordx2 v[14:15], v28, s[4:5]
	s_add_i32 s15, s28, -8
	s_add_u32 s4, s4, 8
	s_addc_u32 s5, s5, 0
.LBB5_315:                              ;   in Loop: Header=BB5_292 Depth=1
	s_cmp_gt_u32 s15, 7
	s_cbranch_scc1 .LBB5_319
; %bb.316:                              ;   in Loop: Header=BB5_292 Depth=1
	s_cmp_eq_u32 s15, 0
	s_cbranch_scc1 .LBB5_320
; %bb.317:                              ;   in Loop: Header=BB5_292 Depth=1
	v_mov_b32_e32 v16, 0
	s_mov_b64 s[24:25], 0
	v_mov_b32_e32 v17, 0
	s_mov_b64 s[26:27], 0
.LBB5_318:                              ;   Parent Loop BB5_292 Depth=1
                                        ; =>  This Inner Loop Header: Depth=2
	s_add_u32 s28, s4, s26
	s_addc_u32 s29, s5, s27
	global_load_ubyte v4, v28, s[28:29]
	s_add_u32 s26, s26, 1
	s_addc_u32 s27, s27, 0
	s_waitcnt vmcnt(0)
	v_and_b32_e32 v27, 0xffff, v4
	v_lshlrev_b64 v[4:5], s24, v[27:28]
	s_add_u32 s24, s24, 8
	s_addc_u32 s25, s25, 0
	v_or_b32_e32 v16, v4, v16
	s_cmp_lg_u32 s15, s26
	v_or_b32_e32 v17, v5, v17
	s_cbranch_scc1 .LBB5_318
	s_branch .LBB5_321
.LBB5_319:                              ;   in Loop: Header=BB5_292 Depth=1
                                        ; implicit-def: $vgpr16_vgpr17
                                        ; implicit-def: $sgpr28
	s_branch .LBB5_322
.LBB5_320:                              ;   in Loop: Header=BB5_292 Depth=1
	v_mov_b32_e32 v16, 0
	v_mov_b32_e32 v17, 0
.LBB5_321:                              ;   in Loop: Header=BB5_292 Depth=1
	s_mov_b32 s28, 0
	s_cbranch_execnz .LBB5_323
.LBB5_322:                              ;   in Loop: Header=BB5_292 Depth=1
	global_load_dwordx2 v[16:17], v28, s[4:5]
	s_add_i32 s28, s15, -8
	s_add_u32 s4, s4, 8
	s_addc_u32 s5, s5, 0
.LBB5_323:                              ;   in Loop: Header=BB5_292 Depth=1
	s_cmp_gt_u32 s28, 7
	s_cbranch_scc1 .LBB5_327
; %bb.324:                              ;   in Loop: Header=BB5_292 Depth=1
	s_cmp_eq_u32 s28, 0
	s_cbranch_scc1 .LBB5_328
; %bb.325:                              ;   in Loop: Header=BB5_292 Depth=1
	v_mov_b32_e32 v18, 0
	s_mov_b64 s[24:25], 0
	v_mov_b32_e32 v19, 0
	s_mov_b64 s[26:27], 0
.LBB5_326:                              ;   Parent Loop BB5_292 Depth=1
                                        ; =>  This Inner Loop Header: Depth=2
	s_add_u32 vcc_lo, s4, s26
	s_addc_u32 vcc_hi, s5, s27
	global_load_ubyte v4, v28, vcc
	s_add_u32 s26, s26, 1
	s_addc_u32 s27, s27, 0
	s_waitcnt vmcnt(0)
	v_and_b32_e32 v27, 0xffff, v4
	v_lshlrev_b64 v[4:5], s24, v[27:28]
	s_add_u32 s24, s24, 8
	s_addc_u32 s25, s25, 0
	v_or_b32_e32 v18, v4, v18
	s_cmp_lg_u32 s28, s26
	v_or_b32_e32 v19, v5, v19
	s_cbranch_scc1 .LBB5_326
	s_branch .LBB5_329
.LBB5_327:                              ;   in Loop: Header=BB5_292 Depth=1
                                        ; implicit-def: $sgpr15
	s_branch .LBB5_330
.LBB5_328:                              ;   in Loop: Header=BB5_292 Depth=1
	v_mov_b32_e32 v18, 0
	v_mov_b32_e32 v19, 0
.LBB5_329:                              ;   in Loop: Header=BB5_292 Depth=1
	s_mov_b32 s15, 0
	s_cbranch_execnz .LBB5_331
.LBB5_330:                              ;   in Loop: Header=BB5_292 Depth=1
	global_load_dwordx2 v[18:19], v28, s[4:5]
	s_add_i32 s15, s28, -8
	s_add_u32 s4, s4, 8
	s_addc_u32 s5, s5, 0
.LBB5_331:                              ;   in Loop: Header=BB5_292 Depth=1
	s_cmp_gt_u32 s15, 7
	s_cbranch_scc1 .LBB5_335
; %bb.332:                              ;   in Loop: Header=BB5_292 Depth=1
	s_cmp_eq_u32 s15, 0
	s_cbranch_scc1 .LBB5_336
; %bb.333:                              ;   in Loop: Header=BB5_292 Depth=1
	v_mov_b32_e32 v20, 0
	s_mov_b64 s[24:25], 0
	v_mov_b32_e32 v21, 0
	s_mov_b64 s[26:27], 0
.LBB5_334:                              ;   Parent Loop BB5_292 Depth=1
                                        ; =>  This Inner Loop Header: Depth=2
	s_add_u32 s28, s4, s26
	s_addc_u32 s29, s5, s27
	global_load_ubyte v4, v28, s[28:29]
	s_add_u32 s26, s26, 1
	s_addc_u32 s27, s27, 0
	s_waitcnt vmcnt(0)
	v_and_b32_e32 v27, 0xffff, v4
	v_lshlrev_b64 v[4:5], s24, v[27:28]
	s_add_u32 s24, s24, 8
	s_addc_u32 s25, s25, 0
	v_or_b32_e32 v20, v4, v20
	s_cmp_lg_u32 s15, s26
	v_or_b32_e32 v21, v5, v21
	s_cbranch_scc1 .LBB5_334
	s_branch .LBB5_337
.LBB5_335:                              ;   in Loop: Header=BB5_292 Depth=1
                                        ; implicit-def: $vgpr20_vgpr21
                                        ; implicit-def: $sgpr28
	s_branch .LBB5_338
.LBB5_336:                              ;   in Loop: Header=BB5_292 Depth=1
	v_mov_b32_e32 v20, 0
	v_mov_b32_e32 v21, 0
.LBB5_337:                              ;   in Loop: Header=BB5_292 Depth=1
	s_mov_b32 s28, 0
	s_cbranch_execnz .LBB5_339
.LBB5_338:                              ;   in Loop: Header=BB5_292 Depth=1
	global_load_dwordx2 v[20:21], v28, s[4:5]
	s_add_i32 s28, s15, -8
	s_add_u32 s4, s4, 8
	s_addc_u32 s5, s5, 0
.LBB5_339:                              ;   in Loop: Header=BB5_292 Depth=1
	s_cmp_gt_u32 s28, 7
	s_cbranch_scc1 .LBB5_343
; %bb.340:                              ;   in Loop: Header=BB5_292 Depth=1
	s_cmp_eq_u32 s28, 0
	s_cbranch_scc1 .LBB5_344
; %bb.341:                              ;   in Loop: Header=BB5_292 Depth=1
	v_mov_b32_e32 v22, 0
	s_mov_b64 s[24:25], 0
	v_mov_b32_e32 v23, 0
	s_mov_b64 s[26:27], s[4:5]
.LBB5_342:                              ;   Parent Loop BB5_292 Depth=1
                                        ; =>  This Inner Loop Header: Depth=2
	global_load_ubyte v4, v28, s[26:27]
	s_add_i32 s28, s28, -1
	s_waitcnt vmcnt(0)
	v_and_b32_e32 v27, 0xffff, v4
	v_lshlrev_b64 v[4:5], s24, v[27:28]
	s_add_u32 s24, s24, 8
	s_addc_u32 s25, s25, 0
	s_add_u32 s26, s26, 1
	s_addc_u32 s27, s27, 0
	v_or_b32_e32 v22, v4, v22
	s_cmp_lg_u32 s28, 0
	v_or_b32_e32 v23, v5, v23
	s_cbranch_scc1 .LBB5_342
	s_branch .LBB5_345
.LBB5_343:                              ;   in Loop: Header=BB5_292 Depth=1
	s_branch .LBB5_346
.LBB5_344:                              ;   in Loop: Header=BB5_292 Depth=1
	v_mov_b32_e32 v22, 0
	v_mov_b32_e32 v23, 0
.LBB5_345:                              ;   in Loop: Header=BB5_292 Depth=1
	s_cbranch_execnz .LBB5_347
.LBB5_346:                              ;   in Loop: Header=BB5_292 Depth=1
	global_load_dwordx2 v[22:23], v28, s[4:5]
.LBB5_347:                              ;   in Loop: Header=BB5_292 Depth=1
	v_readfirstlane_b32 s4, v32
	s_waitcnt vmcnt(0)
	v_mov_b32_e32 v4, 0
	v_mov_b32_e32 v5, 0
	v_cmp_eq_u32_e64 s[4:5], s4, v32
	s_and_saveexec_b64 s[24:25], s[4:5]
	s_cbranch_execz .LBB5_353
; %bb.348:                              ;   in Loop: Header=BB5_292 Depth=1
	global_load_dwordx2 v[26:27], v28, s[6:7] offset:24 glc
	s_waitcnt vmcnt(0)
	buffer_wbinvl1_vol
	global_load_dwordx2 v[4:5], v28, s[6:7] offset:40
	global_load_dwordx2 v[8:9], v28, s[6:7]
	s_waitcnt vmcnt(1)
	v_and_b32_e32 v4, v4, v26
	v_and_b32_e32 v5, v5, v27
	v_mul_lo_u32 v5, v5, 24
	v_mul_hi_u32 v24, v4, 24
	v_mul_lo_u32 v4, v4, 24
	v_add_u32_e32 v5, v24, v5
	s_waitcnt vmcnt(0)
	v_add_co_u32_e32 v4, vcc, v8, v4
	v_addc_co_u32_e32 v5, vcc, v9, v5, vcc
	global_load_dwordx2 v[24:25], v[4:5], off glc
	s_waitcnt vmcnt(0)
	global_atomic_cmpswap_x2 v[4:5], v28, v[24:27], s[6:7] offset:24 glc
	s_waitcnt vmcnt(0)
	buffer_wbinvl1_vol
	v_cmp_ne_u64_e32 vcc, v[4:5], v[26:27]
	s_and_saveexec_b64 s[26:27], vcc
	s_cbranch_execz .LBB5_352
; %bb.349:                              ;   in Loop: Header=BB5_292 Depth=1
	s_mov_b64 s[28:29], 0
.LBB5_350:                              ;   Parent Loop BB5_292 Depth=1
                                        ; =>  This Inner Loop Header: Depth=2
	s_sleep 1
	global_load_dwordx2 v[8:9], v28, s[6:7] offset:40
	global_load_dwordx2 v[24:25], v28, s[6:7]
	v_mov_b32_e32 v27, v5
	v_mov_b32_e32 v26, v4
	s_waitcnt vmcnt(1)
	v_and_b32_e32 v4, v8, v26
	s_waitcnt vmcnt(0)
	v_mad_u64_u32 v[4:5], vcc, v4, 24, v[24:25]
	v_and_b32_e32 v8, v9, v27
	v_mad_u64_u32 v[8:9], vcc, v8, 24, v[5:6]
	v_mov_b32_e32 v5, v8
	global_load_dwordx2 v[24:25], v[4:5], off glc
	s_waitcnt vmcnt(0)
	global_atomic_cmpswap_x2 v[4:5], v28, v[24:27], s[6:7] offset:24 glc
	s_waitcnt vmcnt(0)
	buffer_wbinvl1_vol
	v_cmp_eq_u64_e32 vcc, v[4:5], v[26:27]
	s_or_b64 s[28:29], vcc, s[28:29]
	s_andn2_b64 exec, exec, s[28:29]
	s_cbranch_execnz .LBB5_350
; %bb.351:                              ;   in Loop: Header=BB5_292 Depth=1
	s_or_b64 exec, exec, s[28:29]
.LBB5_352:                              ;   in Loop: Header=BB5_292 Depth=1
	s_or_b64 exec, exec, s[26:27]
.LBB5_353:                              ;   in Loop: Header=BB5_292 Depth=1
	s_or_b64 exec, exec, s[24:25]
	global_load_dwordx2 v[8:9], v28, s[6:7] offset:40
	global_load_dwordx4 v[24:27], v28, s[6:7]
	v_readfirstlane_b32 s24, v4
	v_readfirstlane_b32 s25, v5
	s_mov_b64 s[26:27], exec
	s_waitcnt vmcnt(1)
	v_readfirstlane_b32 s28, v8
	v_readfirstlane_b32 s29, v9
	s_and_b64 s[28:29], s[24:25], s[28:29]
	s_mul_i32 s15, s29, 24
	s_mul_hi_u32 vcc_lo, s28, 24
	s_mul_i32 vcc_hi, s28, 24
	s_add_i32 s15, vcc_lo, s15
	v_mov_b32_e32 v4, s15
	s_waitcnt vmcnt(0)
	v_add_co_u32_e32 v29, vcc, vcc_hi, v24
	v_addc_co_u32_e32 v30, vcc, v25, v4, vcc
	s_and_saveexec_b64 vcc, s[4:5]
	s_cbranch_execz .LBB5_355
; %bb.354:                              ;   in Loop: Header=BB5_292 Depth=1
	v_mov_b32_e32 v4, s26
	v_mov_b32_e32 v5, s27
	global_store_dwordx4 v[29:30], v[4:7], off offset:8
.LBB5_355:                              ;   in Loop: Header=BB5_292 Depth=1
	s_or_b64 exec, exec, vcc
	s_lshl_b64 s[26:27], s[28:29], 12
	v_mov_b32_e32 v4, s27
	v_add_co_u32_e32 v26, vcc, s26, v26
	v_addc_co_u32_e32 v34, vcc, v27, v4, vcc
	v_cmp_gt_u64_e64 vcc, s[20:21], 56
	v_or_b32_e32 v5, v2, v33
	s_lshl_b32 s15, s22, 2
	v_cndmask_b32_e32 v2, v5, v2, vcc
	s_add_i32 s15, s15, 28
	v_or_b32_e32 v4, 0, v3
	s_and_b32 s15, s15, 0x1e0
	v_and_b32_e32 v2, 0xffffff1f, v2
	v_cndmask_b32_e32 v9, v4, v3, vcc
	v_or_b32_e32 v8, s15, v2
	v_readfirstlane_b32 s26, v26
	v_readfirstlane_b32 s27, v34
	s_nop 4
	global_store_dwordx4 v31, v[8:11], s[26:27]
	global_store_dwordx4 v31, v[12:15], s[26:27] offset:16
	global_store_dwordx4 v31, v[16:19], s[26:27] offset:32
	;; [unrolled: 1-line block ×3, first 2 shown]
	s_and_saveexec_b64 s[26:27], s[4:5]
	s_cbranch_execz .LBB5_363
; %bb.356:                              ;   in Loop: Header=BB5_292 Depth=1
	global_load_dwordx2 v[12:13], v28, s[6:7] offset:32 glc
	global_load_dwordx2 v[2:3], v28, s[6:7] offset:40
	v_mov_b32_e32 v10, s24
	v_mov_b32_e32 v11, s25
	s_waitcnt vmcnt(0)
	v_readfirstlane_b32 s28, v2
	v_readfirstlane_b32 s29, v3
	s_and_b64 s[28:29], s[28:29], s[24:25]
	s_mul_i32 s15, s29, 24
	s_mul_hi_u32 s29, s28, 24
	s_mul_i32 s28, s28, 24
	s_add_i32 s15, s29, s15
	v_mov_b32_e32 v2, s15
	v_add_co_u32_e32 v8, vcc, s28, v24
	v_addc_co_u32_e32 v9, vcc, v25, v2, vcc
	global_store_dwordx2 v[8:9], v[12:13], off
	s_waitcnt vmcnt(0)
	global_atomic_cmpswap_x2 v[4:5], v28, v[10:13], s[6:7] offset:32 glc
	s_waitcnt vmcnt(0)
	v_cmp_ne_u64_e32 vcc, v[4:5], v[12:13]
	s_and_saveexec_b64 s[28:29], vcc
	s_cbranch_execz .LBB5_359
; %bb.357:                              ;   in Loop: Header=BB5_292 Depth=1
	s_mov_b64 s[30:31], 0
.LBB5_358:                              ;   Parent Loop BB5_292 Depth=1
                                        ; =>  This Inner Loop Header: Depth=2
	s_sleep 1
	global_store_dwordx2 v[8:9], v[4:5], off
	v_mov_b32_e32 v2, s24
	v_mov_b32_e32 v3, s25
	s_waitcnt vmcnt(0)
	global_atomic_cmpswap_x2 v[2:3], v28, v[2:5], s[6:7] offset:32 glc
	s_waitcnt vmcnt(0)
	v_cmp_eq_u64_e32 vcc, v[2:3], v[4:5]
	v_mov_b32_e32 v5, v3
	s_or_b64 s[30:31], vcc, s[30:31]
	v_mov_b32_e32 v4, v2
	s_andn2_b64 exec, exec, s[30:31]
	s_cbranch_execnz .LBB5_358
.LBB5_359:                              ;   in Loop: Header=BB5_292 Depth=1
	s_or_b64 exec, exec, s[28:29]
	global_load_dwordx2 v[2:3], v28, s[6:7] offset:16
	s_mov_b64 s[30:31], exec
	v_mbcnt_lo_u32_b32 v4, s30, 0
	v_mbcnt_hi_u32_b32 v4, s31, v4
	v_cmp_eq_u32_e32 vcc, 0, v4
	s_and_saveexec_b64 s[28:29], vcc
	s_cbranch_execz .LBB5_361
; %bb.360:                              ;   in Loop: Header=BB5_292 Depth=1
	s_bcnt1_i32_b64 s15, s[30:31]
	v_mov_b32_e32 v27, s15
	s_waitcnt vmcnt(0)
	global_atomic_add_x2 v[2:3], v[27:28], off offset:8
.LBB5_361:                              ;   in Loop: Header=BB5_292 Depth=1
	s_or_b64 exec, exec, s[28:29]
	s_waitcnt vmcnt(0)
	global_load_dwordx2 v[4:5], v[2:3], off offset:16
	s_waitcnt vmcnt(0)
	v_cmp_eq_u64_e32 vcc, 0, v[4:5]
	s_cbranch_vccnz .LBB5_363
; %bb.362:                              ;   in Loop: Header=BB5_292 Depth=1
	global_load_dword v27, v[2:3], off offset:24
	s_waitcnt vmcnt(0)
	v_and_b32_e32 v2, 0xffffff, v27
	v_readfirstlane_b32 m0, v2
	global_store_dwordx2 v[4:5], v[27:28], off
	s_sendmsg sendmsg(MSG_INTERRUPT)
.LBB5_363:                              ;   in Loop: Header=BB5_292 Depth=1
	s_or_b64 exec, exec, s[26:27]
	v_add_co_u32_e32 v2, vcc, v26, v31
	v_addc_co_u32_e32 v3, vcc, 0, v34, vcc
	s_branch .LBB5_367
.LBB5_364:                              ;   in Loop: Header=BB5_367 Depth=2
	s_or_b64 exec, exec, s[26:27]
	v_readfirstlane_b32 s15, v4
	s_cmp_eq_u32 s15, 0
	s_cbranch_scc1 .LBB5_366
; %bb.365:                              ;   in Loop: Header=BB5_367 Depth=2
	s_sleep 1
	s_cbranch_execnz .LBB5_367
	s_branch .LBB5_369
.LBB5_366:                              ;   in Loop: Header=BB5_292 Depth=1
	s_branch .LBB5_369
.LBB5_367:                              ;   Parent Loop BB5_292 Depth=1
                                        ; =>  This Inner Loop Header: Depth=2
	v_mov_b32_e32 v4, 1
	s_and_saveexec_b64 s[26:27], s[4:5]
	s_cbranch_execz .LBB5_364
; %bb.368:                              ;   in Loop: Header=BB5_367 Depth=2
	global_load_dword v4, v[29:30], off offset:20 glc
	s_waitcnt vmcnt(0)
	buffer_wbinvl1_vol
	v_and_b32_e32 v4, 1, v4
	s_branch .LBB5_364
.LBB5_369:                              ;   in Loop: Header=BB5_292 Depth=1
	global_load_dwordx4 v[2:5], v[2:3], off
	s_and_saveexec_b64 s[26:27], s[4:5]
	s_cbranch_execz .LBB5_291
; %bb.370:                              ;   in Loop: Header=BB5_292 Depth=1
	global_load_dwordx2 v[4:5], v28, s[6:7] offset:40
	global_load_dwordx2 v[12:13], v28, s[6:7] offset:24 glc
	global_load_dwordx2 v[14:15], v28, s[6:7]
	v_mov_b32_e32 v9, s25
	s_waitcnt vmcnt(2)
	v_add_co_u32_e32 v10, vcc, 1, v4
	v_addc_co_u32_e32 v11, vcc, 0, v5, vcc
	v_add_co_u32_e32 v8, vcc, s24, v10
	v_addc_co_u32_e32 v9, vcc, v11, v9, vcc
	v_cmp_eq_u64_e32 vcc, 0, v[8:9]
	v_cndmask_b32_e32 v9, v9, v11, vcc
	v_cndmask_b32_e32 v8, v8, v10, vcc
	v_and_b32_e32 v5, v9, v5
	v_and_b32_e32 v4, v8, v4
	v_mul_lo_u32 v5, v5, 24
	v_mul_hi_u32 v11, v4, 24
	v_mul_lo_u32 v4, v4, 24
	s_waitcnt vmcnt(1)
	v_mov_b32_e32 v10, v12
	v_add_u32_e32 v5, v11, v5
	s_waitcnt vmcnt(0)
	v_add_co_u32_e32 v4, vcc, v14, v4
	v_addc_co_u32_e32 v5, vcc, v15, v5, vcc
	global_store_dwordx2 v[4:5], v[12:13], off
	v_mov_b32_e32 v11, v13
	s_waitcnt vmcnt(0)
	global_atomic_cmpswap_x2 v[10:11], v28, v[8:11], s[6:7] offset:24 glc
	s_waitcnt vmcnt(0)
	v_cmp_ne_u64_e32 vcc, v[10:11], v[12:13]
	s_and_b64 exec, exec, vcc
	s_cbranch_execz .LBB5_291
; %bb.371:                              ;   in Loop: Header=BB5_292 Depth=1
	s_mov_b64 s[4:5], 0
.LBB5_372:                              ;   Parent Loop BB5_292 Depth=1
                                        ; =>  This Inner Loop Header: Depth=2
	s_sleep 1
	global_store_dwordx2 v[4:5], v[10:11], off
	s_waitcnt vmcnt(0)
	global_atomic_cmpswap_x2 v[12:13], v28, v[8:11], s[6:7] offset:24 glc
	s_waitcnt vmcnt(0)
	v_cmp_eq_u64_e32 vcc, v[12:13], v[10:11]
	v_mov_b32_e32 v10, v12
	s_or_b64 s[4:5], vcc, s[4:5]
	v_mov_b32_e32 v11, v13
	s_andn2_b64 exec, exec, s[4:5]
	s_cbranch_execnz .LBB5_372
	s_branch .LBB5_291
.LBB5_373:
	s_branch .LBB5_401
.LBB5_374:
                                        ; implicit-def: $vgpr2_vgpr3
	s_cbranch_execz .LBB5_401
; %bb.375:
	v_readfirstlane_b32 s4, v32
	v_mov_b32_e32 v8, 0
	v_mov_b32_e32 v9, 0
	v_cmp_eq_u32_e64 s[4:5], s4, v32
	s_and_saveexec_b64 s[18:19], s[4:5]
	s_cbranch_execz .LBB5_381
; %bb.376:
	s_waitcnt vmcnt(0)
	v_mov_b32_e32 v2, 0
	global_load_dwordx2 v[5:6], v2, s[6:7] offset:24 glc
	s_waitcnt vmcnt(0)
	buffer_wbinvl1_vol
	global_load_dwordx2 v[3:4], v2, s[6:7] offset:40
	global_load_dwordx2 v[7:8], v2, s[6:7]
	s_waitcnt vmcnt(1)
	v_and_b32_e32 v3, v3, v5
	v_and_b32_e32 v4, v4, v6
	v_mul_lo_u32 v4, v4, 24
	v_mul_hi_u32 v9, v3, 24
	v_mul_lo_u32 v3, v3, 24
	v_add_u32_e32 v4, v9, v4
	s_waitcnt vmcnt(0)
	v_add_co_u32_e32 v3, vcc, v7, v3
	v_addc_co_u32_e32 v4, vcc, v8, v4, vcc
	global_load_dwordx2 v[3:4], v[3:4], off glc
	s_waitcnt vmcnt(0)
	global_atomic_cmpswap_x2 v[8:9], v2, v[3:6], s[6:7] offset:24 glc
	s_waitcnt vmcnt(0)
	buffer_wbinvl1_vol
	v_cmp_ne_u64_e32 vcc, v[8:9], v[5:6]
	s_and_saveexec_b64 s[20:21], vcc
	s_cbranch_execz .LBB5_380
; %bb.377:
	s_mov_b64 s[22:23], 0
.LBB5_378:                              ; =>This Inner Loop Header: Depth=1
	s_sleep 1
	global_load_dwordx2 v[3:4], v2, s[6:7] offset:40
	global_load_dwordx2 v[10:11], v2, s[6:7]
	v_mov_b32_e32 v5, v8
	v_mov_b32_e32 v6, v9
	s_waitcnt vmcnt(1)
	v_and_b32_e32 v3, v3, v5
	s_waitcnt vmcnt(0)
	v_mad_u64_u32 v[7:8], s[24:25], v3, 24, v[10:11]
	v_and_b32_e32 v4, v4, v6
	v_mov_b32_e32 v3, v8
	v_mad_u64_u32 v[3:4], s[24:25], v4, 24, v[3:4]
	v_mov_b32_e32 v8, v3
	global_load_dwordx2 v[3:4], v[7:8], off glc
	s_waitcnt vmcnt(0)
	global_atomic_cmpswap_x2 v[8:9], v2, v[3:6], s[6:7] offset:24 glc
	s_waitcnt vmcnt(0)
	buffer_wbinvl1_vol
	v_cmp_eq_u64_e32 vcc, v[8:9], v[5:6]
	s_or_b64 s[22:23], vcc, s[22:23]
	s_andn2_b64 exec, exec, s[22:23]
	s_cbranch_execnz .LBB5_378
; %bb.379:
	s_or_b64 exec, exec, s[22:23]
.LBB5_380:
	s_or_b64 exec, exec, s[20:21]
.LBB5_381:
	s_or_b64 exec, exec, s[18:19]
	s_waitcnt vmcnt(0)
	v_mov_b32_e32 v2, 0
	global_load_dwordx2 v[10:11], v2, s[6:7] offset:40
	global_load_dwordx4 v[4:7], v2, s[6:7]
	v_readfirstlane_b32 s18, v8
	v_readfirstlane_b32 s19, v9
	s_mov_b64 s[20:21], exec
	s_waitcnt vmcnt(1)
	v_readfirstlane_b32 s22, v10
	v_readfirstlane_b32 s23, v11
	s_and_b64 s[22:23], s[18:19], s[22:23]
	s_mul_i32 s15, s23, 24
	s_mul_hi_u32 s24, s22, 24
	s_mul_i32 s25, s22, 24
	s_add_i32 s15, s24, s15
	v_mov_b32_e32 v3, s15
	s_waitcnt vmcnt(0)
	v_add_co_u32_e32 v8, vcc, s25, v4
	v_addc_co_u32_e32 v9, vcc, v5, v3, vcc
	s_and_saveexec_b64 s[24:25], s[4:5]
	s_cbranch_execz .LBB5_383
; %bb.382:
	v_mov_b32_e32 v10, s20
	v_mov_b32_e32 v11, s21
	;; [unrolled: 1-line block ×4, first 2 shown]
	global_store_dwordx4 v[8:9], v[10:13], off offset:8
.LBB5_383:
	s_or_b64 exec, exec, s[24:25]
	s_lshl_b64 s[20:21], s[22:23], 12
	v_mov_b32_e32 v3, s21
	v_add_co_u32_e32 v10, vcc, s20, v6
	v_addc_co_u32_e32 v11, vcc, v7, v3, vcc
	s_movk_i32 s15, 0xff1f
	v_and_or_b32 v0, v0, s15, 32
	s_mov_b32 s20, 0
	v_mov_b32_e32 v3, v2
	v_readfirstlane_b32 s24, v10
	v_readfirstlane_b32 s25, v11
	v_add_co_u32_e32 v6, vcc, v10, v31
	s_mov_b32 s21, s20
	s_mov_b32 s22, s20
	s_mov_b32 s23, s20
	s_nop 0
	global_store_dwordx4 v31, v[0:3], s[24:25]
	v_addc_co_u32_e32 v7, vcc, 0, v11, vcc
	v_mov_b32_e32 v0, s20
	v_mov_b32_e32 v1, s21
	;; [unrolled: 1-line block ×4, first 2 shown]
	global_store_dwordx4 v31, v[0:3], s[24:25] offset:16
	global_store_dwordx4 v31, v[0:3], s[24:25] offset:32
	;; [unrolled: 1-line block ×3, first 2 shown]
	s_and_saveexec_b64 s[20:21], s[4:5]
	s_cbranch_execz .LBB5_391
; %bb.384:
	v_mov_b32_e32 v10, 0
	global_load_dwordx2 v[13:14], v10, s[6:7] offset:32 glc
	global_load_dwordx2 v[0:1], v10, s[6:7] offset:40
	v_mov_b32_e32 v11, s18
	v_mov_b32_e32 v12, s19
	s_waitcnt vmcnt(0)
	v_readfirstlane_b32 s22, v0
	v_readfirstlane_b32 s23, v1
	s_and_b64 s[22:23], s[22:23], s[18:19]
	s_mul_i32 s15, s23, 24
	s_mul_hi_u32 s23, s22, 24
	s_mul_i32 s22, s22, 24
	s_add_i32 s15, s23, s15
	v_mov_b32_e32 v0, s15
	v_add_co_u32_e32 v4, vcc, s22, v4
	v_addc_co_u32_e32 v5, vcc, v5, v0, vcc
	global_store_dwordx2 v[4:5], v[13:14], off
	s_waitcnt vmcnt(0)
	global_atomic_cmpswap_x2 v[2:3], v10, v[11:14], s[6:7] offset:32 glc
	s_waitcnt vmcnt(0)
	v_cmp_ne_u64_e32 vcc, v[2:3], v[13:14]
	s_and_saveexec_b64 s[22:23], vcc
	s_cbranch_execz .LBB5_387
; %bb.385:
	s_mov_b64 s[24:25], 0
.LBB5_386:                              ; =>This Inner Loop Header: Depth=1
	s_sleep 1
	global_store_dwordx2 v[4:5], v[2:3], off
	v_mov_b32_e32 v0, s18
	v_mov_b32_e32 v1, s19
	s_waitcnt vmcnt(0)
	global_atomic_cmpswap_x2 v[0:1], v10, v[0:3], s[6:7] offset:32 glc
	s_waitcnt vmcnt(0)
	v_cmp_eq_u64_e32 vcc, v[0:1], v[2:3]
	v_mov_b32_e32 v3, v1
	s_or_b64 s[24:25], vcc, s[24:25]
	v_mov_b32_e32 v2, v0
	s_andn2_b64 exec, exec, s[24:25]
	s_cbranch_execnz .LBB5_386
.LBB5_387:
	s_or_b64 exec, exec, s[22:23]
	v_mov_b32_e32 v3, 0
	global_load_dwordx2 v[0:1], v3, s[6:7] offset:16
	s_mov_b64 s[22:23], exec
	v_mbcnt_lo_u32_b32 v2, s22, 0
	v_mbcnt_hi_u32_b32 v2, s23, v2
	v_cmp_eq_u32_e32 vcc, 0, v2
	s_and_saveexec_b64 s[24:25], vcc
	s_cbranch_execz .LBB5_389
; %bb.388:
	s_bcnt1_i32_b64 s15, s[22:23]
	v_mov_b32_e32 v2, s15
	s_waitcnt vmcnt(0)
	global_atomic_add_x2 v[0:1], v[2:3], off offset:8
.LBB5_389:
	s_or_b64 exec, exec, s[24:25]
	s_waitcnt vmcnt(0)
	global_load_dwordx2 v[2:3], v[0:1], off offset:16
	s_waitcnt vmcnt(0)
	v_cmp_eq_u64_e32 vcc, 0, v[2:3]
	s_cbranch_vccnz .LBB5_391
; %bb.390:
	global_load_dword v0, v[0:1], off offset:24
	v_mov_b32_e32 v1, 0
	s_waitcnt vmcnt(0)
	global_store_dwordx2 v[2:3], v[0:1], off
	v_and_b32_e32 v0, 0xffffff, v0
	v_readfirstlane_b32 m0, v0
	s_sendmsg sendmsg(MSG_INTERRUPT)
.LBB5_391:
	s_or_b64 exec, exec, s[20:21]
	s_branch .LBB5_395
.LBB5_392:                              ;   in Loop: Header=BB5_395 Depth=1
	s_or_b64 exec, exec, s[20:21]
	v_readfirstlane_b32 s15, v0
	s_cmp_eq_u32 s15, 0
	s_cbranch_scc1 .LBB5_394
; %bb.393:                              ;   in Loop: Header=BB5_395 Depth=1
	s_sleep 1
	s_cbranch_execnz .LBB5_395
	s_branch .LBB5_397
.LBB5_394:
	s_branch .LBB5_397
.LBB5_395:                              ; =>This Inner Loop Header: Depth=1
	v_mov_b32_e32 v0, 1
	s_and_saveexec_b64 s[20:21], s[4:5]
	s_cbranch_execz .LBB5_392
; %bb.396:                              ;   in Loop: Header=BB5_395 Depth=1
	global_load_dword v0, v[8:9], off offset:20 glc
	s_waitcnt vmcnt(0)
	buffer_wbinvl1_vol
	v_and_b32_e32 v0, 1, v0
	s_branch .LBB5_392
.LBB5_397:
	global_load_dwordx2 v[2:3], v[6:7], off
	s_and_saveexec_b64 s[20:21], s[4:5]
	s_cbranch_execz .LBB5_400
; %bb.398:
	v_mov_b32_e32 v8, 0
	global_load_dwordx2 v[0:1], v8, s[6:7] offset:40
	global_load_dwordx2 v[9:10], v8, s[6:7] offset:24 glc
	global_load_dwordx2 v[11:12], v8, s[6:7]
	v_mov_b32_e32 v5, s19
	s_mov_b64 s[4:5], 0
	s_waitcnt vmcnt(2)
	v_add_co_u32_e32 v6, vcc, 1, v0
	v_addc_co_u32_e32 v7, vcc, 0, v1, vcc
	v_add_co_u32_e32 v4, vcc, s18, v6
	v_addc_co_u32_e32 v5, vcc, v7, v5, vcc
	v_cmp_eq_u64_e32 vcc, 0, v[4:5]
	v_cndmask_b32_e32 v5, v5, v7, vcc
	v_cndmask_b32_e32 v4, v4, v6, vcc
	v_and_b32_e32 v1, v5, v1
	v_and_b32_e32 v0, v4, v0
	v_mul_lo_u32 v1, v1, 24
	v_mul_hi_u32 v7, v0, 24
	v_mul_lo_u32 v0, v0, 24
	s_waitcnt vmcnt(1)
	v_mov_b32_e32 v6, v9
	v_add_u32_e32 v1, v7, v1
	s_waitcnt vmcnt(0)
	v_add_co_u32_e32 v0, vcc, v11, v0
	v_addc_co_u32_e32 v1, vcc, v12, v1, vcc
	global_store_dwordx2 v[0:1], v[9:10], off
	v_mov_b32_e32 v7, v10
	s_waitcnt vmcnt(0)
	global_atomic_cmpswap_x2 v[6:7], v8, v[4:7], s[6:7] offset:24 glc
	s_waitcnt vmcnt(0)
	v_cmp_ne_u64_e32 vcc, v[6:7], v[9:10]
	s_and_b64 exec, exec, vcc
	s_cbranch_execz .LBB5_400
.LBB5_399:                              ; =>This Inner Loop Header: Depth=1
	s_sleep 1
	global_store_dwordx2 v[0:1], v[6:7], off
	s_waitcnt vmcnt(0)
	global_atomic_cmpswap_x2 v[9:10], v8, v[4:7], s[6:7] offset:24 glc
	s_waitcnt vmcnt(0)
	v_cmp_eq_u64_e32 vcc, v[9:10], v[6:7]
	v_mov_b32_e32 v6, v9
	s_or_b64 s[4:5], vcc, s[4:5]
	v_mov_b32_e32 v7, v10
	s_andn2_b64 exec, exec, s[4:5]
	s_cbranch_execnz .LBB5_399
.LBB5_400:
	s_or_b64 exec, exec, s[20:21]
.LBB5_401:
	v_readfirstlane_b32 s4, v32
	s_waitcnt vmcnt(0)
	v_mov_b32_e32 v0, 0
	v_mov_b32_e32 v1, 0
	v_cmp_eq_u32_e64 s[4:5], s4, v32
	s_and_saveexec_b64 s[18:19], s[4:5]
	s_cbranch_execz .LBB5_407
; %bb.402:
	v_mov_b32_e32 v4, 0
	global_load_dwordx2 v[7:8], v4, s[6:7] offset:24 glc
	s_waitcnt vmcnt(0)
	buffer_wbinvl1_vol
	global_load_dwordx2 v[0:1], v4, s[6:7] offset:40
	global_load_dwordx2 v[5:6], v4, s[6:7]
	s_waitcnt vmcnt(1)
	v_and_b32_e32 v0, v0, v7
	v_and_b32_e32 v1, v1, v8
	v_mul_lo_u32 v1, v1, 24
	v_mul_hi_u32 v9, v0, 24
	v_mul_lo_u32 v0, v0, 24
	v_add_u32_e32 v1, v9, v1
	s_waitcnt vmcnt(0)
	v_add_co_u32_e32 v0, vcc, v5, v0
	v_addc_co_u32_e32 v1, vcc, v6, v1, vcc
	global_load_dwordx2 v[5:6], v[0:1], off glc
	s_waitcnt vmcnt(0)
	global_atomic_cmpswap_x2 v[0:1], v4, v[5:8], s[6:7] offset:24 glc
	s_waitcnt vmcnt(0)
	buffer_wbinvl1_vol
	v_cmp_ne_u64_e32 vcc, v[0:1], v[7:8]
	s_and_saveexec_b64 s[20:21], vcc
	s_cbranch_execz .LBB5_406
; %bb.403:
	s_mov_b64 s[22:23], 0
.LBB5_404:                              ; =>This Inner Loop Header: Depth=1
	s_sleep 1
	global_load_dwordx2 v[5:6], v4, s[6:7] offset:40
	global_load_dwordx2 v[9:10], v4, s[6:7]
	v_mov_b32_e32 v8, v1
	v_mov_b32_e32 v7, v0
	s_waitcnt vmcnt(1)
	v_and_b32_e32 v0, v5, v7
	s_waitcnt vmcnt(0)
	v_mad_u64_u32 v[0:1], s[24:25], v0, 24, v[9:10]
	v_and_b32_e32 v5, v6, v8
	v_mad_u64_u32 v[5:6], s[24:25], v5, 24, v[1:2]
	v_mov_b32_e32 v1, v5
	global_load_dwordx2 v[5:6], v[0:1], off glc
	s_waitcnt vmcnt(0)
	global_atomic_cmpswap_x2 v[0:1], v4, v[5:8], s[6:7] offset:24 glc
	s_waitcnt vmcnt(0)
	buffer_wbinvl1_vol
	v_cmp_eq_u64_e32 vcc, v[0:1], v[7:8]
	s_or_b64 s[22:23], vcc, s[22:23]
	s_andn2_b64 exec, exec, s[22:23]
	s_cbranch_execnz .LBB5_404
; %bb.405:
	s_or_b64 exec, exec, s[22:23]
.LBB5_406:
	s_or_b64 exec, exec, s[20:21]
.LBB5_407:
	s_or_b64 exec, exec, s[18:19]
	v_mov_b32_e32 v5, 0
	global_load_dwordx2 v[10:11], v5, s[6:7] offset:40
	global_load_dwordx4 v[6:9], v5, s[6:7]
	v_readfirstlane_b32 s18, v0
	v_readfirstlane_b32 s19, v1
	s_mov_b64 s[20:21], exec
	s_waitcnt vmcnt(1)
	v_readfirstlane_b32 s22, v10
	v_readfirstlane_b32 s23, v11
	s_and_b64 s[22:23], s[18:19], s[22:23]
	s_mul_i32 s15, s23, 24
	s_mul_hi_u32 s24, s22, 24
	s_mul_i32 s25, s22, 24
	s_add_i32 s15, s24, s15
	v_mov_b32_e32 v0, s15
	s_waitcnt vmcnt(0)
	v_add_co_u32_e32 v10, vcc, s25, v6
	v_addc_co_u32_e32 v11, vcc, v7, v0, vcc
	s_and_saveexec_b64 s[24:25], s[4:5]
	s_cbranch_execz .LBB5_409
; %bb.408:
	v_mov_b32_e32 v12, s20
	v_mov_b32_e32 v13, s21
	;; [unrolled: 1-line block ×4, first 2 shown]
	global_store_dwordx4 v[10:11], v[12:15], off offset:8
.LBB5_409:
	s_or_b64 exec, exec, s[24:25]
	s_lshl_b64 s[20:21], s[22:23], 12
	v_mov_b32_e32 v0, s21
	v_add_co_u32_e32 v1, vcc, s20, v8
	v_addc_co_u32_e32 v0, vcc, v9, v0, vcc
	s_movk_i32 s15, 0xff1d
	v_and_or_b32 v2, v2, s15, 34
	s_mov_b32 s20, 0
	v_mov_b32_e32 v4, 10
	v_readfirstlane_b32 s24, v1
	v_readfirstlane_b32 s25, v0
	s_mov_b32 s21, s20
	s_mov_b32 s22, s20
	s_mov_b32 s23, s20
	s_nop 1
	global_store_dwordx4 v31, v[2:5], s[24:25]
	v_mov_b32_e32 v0, s20
	v_mov_b32_e32 v1, s21
	;; [unrolled: 1-line block ×4, first 2 shown]
	global_store_dwordx4 v31, v[0:3], s[24:25] offset:16
	global_store_dwordx4 v31, v[0:3], s[24:25] offset:32
	;; [unrolled: 1-line block ×3, first 2 shown]
	s_and_saveexec_b64 s[20:21], s[4:5]
	s_cbranch_execz .LBB5_417
; %bb.410:
	v_mov_b32_e32 v8, 0
	global_load_dwordx2 v[14:15], v8, s[6:7] offset:32 glc
	global_load_dwordx2 v[0:1], v8, s[6:7] offset:40
	v_mov_b32_e32 v12, s18
	v_mov_b32_e32 v13, s19
	s_waitcnt vmcnt(0)
	v_readfirstlane_b32 s22, v0
	v_readfirstlane_b32 s23, v1
	s_and_b64 s[22:23], s[22:23], s[18:19]
	s_mul_i32 s15, s23, 24
	s_mul_hi_u32 s23, s22, 24
	s_mul_i32 s22, s22, 24
	s_add_i32 s15, s23, s15
	v_mov_b32_e32 v0, s15
	v_add_co_u32_e32 v4, vcc, s22, v6
	v_addc_co_u32_e32 v5, vcc, v7, v0, vcc
	global_store_dwordx2 v[4:5], v[14:15], off
	s_waitcnt vmcnt(0)
	global_atomic_cmpswap_x2 v[2:3], v8, v[12:15], s[6:7] offset:32 glc
	s_waitcnt vmcnt(0)
	v_cmp_ne_u64_e32 vcc, v[2:3], v[14:15]
	s_and_saveexec_b64 s[22:23], vcc
	s_cbranch_execz .LBB5_413
; %bb.411:
	s_mov_b64 s[24:25], 0
.LBB5_412:                              ; =>This Inner Loop Header: Depth=1
	s_sleep 1
	global_store_dwordx2 v[4:5], v[2:3], off
	v_mov_b32_e32 v0, s18
	v_mov_b32_e32 v1, s19
	s_waitcnt vmcnt(0)
	global_atomic_cmpswap_x2 v[0:1], v8, v[0:3], s[6:7] offset:32 glc
	s_waitcnt vmcnt(0)
	v_cmp_eq_u64_e32 vcc, v[0:1], v[2:3]
	v_mov_b32_e32 v3, v1
	s_or_b64 s[24:25], vcc, s[24:25]
	v_mov_b32_e32 v2, v0
	s_andn2_b64 exec, exec, s[24:25]
	s_cbranch_execnz .LBB5_412
.LBB5_413:
	s_or_b64 exec, exec, s[22:23]
	v_mov_b32_e32 v3, 0
	global_load_dwordx2 v[0:1], v3, s[6:7] offset:16
	s_mov_b64 s[22:23], exec
	v_mbcnt_lo_u32_b32 v2, s22, 0
	v_mbcnt_hi_u32_b32 v2, s23, v2
	v_cmp_eq_u32_e32 vcc, 0, v2
	s_and_saveexec_b64 s[24:25], vcc
	s_cbranch_execz .LBB5_415
; %bb.414:
	s_bcnt1_i32_b64 s15, s[22:23]
	v_mov_b32_e32 v2, s15
	s_waitcnt vmcnt(0)
	global_atomic_add_x2 v[0:1], v[2:3], off offset:8
.LBB5_415:
	s_or_b64 exec, exec, s[24:25]
	s_waitcnt vmcnt(0)
	global_load_dwordx2 v[2:3], v[0:1], off offset:16
	s_waitcnt vmcnt(0)
	v_cmp_eq_u64_e32 vcc, 0, v[2:3]
	s_cbranch_vccnz .LBB5_417
; %bb.416:
	global_load_dword v0, v[0:1], off offset:24
	v_mov_b32_e32 v1, 0
	s_waitcnt vmcnt(0)
	global_store_dwordx2 v[2:3], v[0:1], off
	v_and_b32_e32 v0, 0xffffff, v0
	v_readfirstlane_b32 m0, v0
	s_sendmsg sendmsg(MSG_INTERRUPT)
.LBB5_417:
	s_or_b64 exec, exec, s[20:21]
	s_branch .LBB5_421
.LBB5_418:                              ;   in Loop: Header=BB5_421 Depth=1
	s_or_b64 exec, exec, s[20:21]
	v_readfirstlane_b32 s15, v0
	s_cmp_eq_u32 s15, 0
	s_cbranch_scc1 .LBB5_420
; %bb.419:                              ;   in Loop: Header=BB5_421 Depth=1
	s_sleep 1
	s_cbranch_execnz .LBB5_421
	s_branch .LBB5_423
.LBB5_420:
	s_branch .LBB5_423
.LBB5_421:                              ; =>This Inner Loop Header: Depth=1
	v_mov_b32_e32 v0, 1
	s_and_saveexec_b64 s[20:21], s[4:5]
	s_cbranch_execz .LBB5_418
; %bb.422:                              ;   in Loop: Header=BB5_421 Depth=1
	global_load_dword v0, v[10:11], off offset:20 glc
	s_waitcnt vmcnt(0)
	buffer_wbinvl1_vol
	v_and_b32_e32 v0, 1, v0
	s_branch .LBB5_418
.LBB5_423:
	s_and_saveexec_b64 s[20:21], s[4:5]
	s_cbranch_execz .LBB5_426
; %bb.424:
	v_mov_b32_e32 v6, 0
	global_load_dwordx2 v[2:3], v6, s[6:7] offset:40
	global_load_dwordx2 v[7:8], v6, s[6:7] offset:24 glc
	global_load_dwordx2 v[4:5], v6, s[6:7]
	v_mov_b32_e32 v1, s19
	s_mov_b64 s[4:5], 0
	s_waitcnt vmcnt(2)
	v_add_co_u32_e32 v9, vcc, 1, v2
	v_addc_co_u32_e32 v10, vcc, 0, v3, vcc
	v_add_co_u32_e32 v0, vcc, s18, v9
	v_addc_co_u32_e32 v1, vcc, v10, v1, vcc
	v_cmp_eq_u64_e32 vcc, 0, v[0:1]
	v_cndmask_b32_e32 v1, v1, v10, vcc
	v_cndmask_b32_e32 v0, v0, v9, vcc
	v_and_b32_e32 v3, v1, v3
	v_and_b32_e32 v2, v0, v2
	v_mul_lo_u32 v3, v3, 24
	v_mul_hi_u32 v9, v2, 24
	v_mul_lo_u32 v10, v2, 24
	s_waitcnt vmcnt(1)
	v_mov_b32_e32 v2, v7
	v_add_u32_e32 v3, v9, v3
	s_waitcnt vmcnt(0)
	v_add_co_u32_e32 v4, vcc, v4, v10
	v_addc_co_u32_e32 v5, vcc, v5, v3, vcc
	global_store_dwordx2 v[4:5], v[7:8], off
	v_mov_b32_e32 v3, v8
	s_waitcnt vmcnt(0)
	global_atomic_cmpswap_x2 v[2:3], v6, v[0:3], s[6:7] offset:24 glc
	s_waitcnt vmcnt(0)
	v_cmp_ne_u64_e32 vcc, v[2:3], v[7:8]
	s_and_b64 exec, exec, vcc
	s_cbranch_execz .LBB5_426
.LBB5_425:                              ; =>This Inner Loop Header: Depth=1
	s_sleep 1
	global_store_dwordx2 v[4:5], v[2:3], off
	s_waitcnt vmcnt(0)
	global_atomic_cmpswap_x2 v[7:8], v6, v[0:3], s[6:7] offset:24 glc
	s_waitcnt vmcnt(0)
	v_cmp_eq_u64_e32 vcc, v[7:8], v[2:3]
	v_mov_b32_e32 v2, v7
	s_or_b64 s[4:5], vcc, s[4:5]
	v_mov_b32_e32 v3, v8
	s_andn2_b64 exec, exec, s[4:5]
	s_cbranch_execnz .LBB5_425
.LBB5_426:
	s_or_b64 exec, exec, s[20:21]
	v_readfirstlane_b32 s4, v32
	v_mov_b32_e32 v5, 0
	v_mov_b32_e32 v6, 0
	v_cmp_eq_u32_e64 s[4:5], s4, v32
	s_and_saveexec_b64 s[18:19], s[4:5]
	s_cbranch_execz .LBB5_432
; %bb.427:
	v_mov_b32_e32 v0, 0
	global_load_dwordx2 v[3:4], v0, s[6:7] offset:24 glc
	s_waitcnt vmcnt(0)
	buffer_wbinvl1_vol
	global_load_dwordx2 v[1:2], v0, s[6:7] offset:40
	global_load_dwordx2 v[5:6], v0, s[6:7]
	s_waitcnt vmcnt(1)
	v_and_b32_e32 v1, v1, v3
	v_and_b32_e32 v2, v2, v4
	v_mul_lo_u32 v2, v2, 24
	v_mul_hi_u32 v7, v1, 24
	v_mul_lo_u32 v1, v1, 24
	v_add_u32_e32 v2, v7, v2
	s_waitcnt vmcnt(0)
	v_add_co_u32_e32 v1, vcc, v5, v1
	v_addc_co_u32_e32 v2, vcc, v6, v2, vcc
	global_load_dwordx2 v[1:2], v[1:2], off glc
	s_waitcnt vmcnt(0)
	global_atomic_cmpswap_x2 v[5:6], v0, v[1:4], s[6:7] offset:24 glc
	s_waitcnt vmcnt(0)
	buffer_wbinvl1_vol
	v_cmp_ne_u64_e32 vcc, v[5:6], v[3:4]
	s_and_saveexec_b64 s[20:21], vcc
	s_cbranch_execz .LBB5_431
; %bb.428:
	s_mov_b64 s[22:23], 0
.LBB5_429:                              ; =>This Inner Loop Header: Depth=1
	s_sleep 1
	global_load_dwordx2 v[1:2], v0, s[6:7] offset:40
	global_load_dwordx2 v[7:8], v0, s[6:7]
	v_mov_b32_e32 v3, v5
	v_mov_b32_e32 v4, v6
	s_waitcnt vmcnt(1)
	v_and_b32_e32 v1, v1, v3
	s_waitcnt vmcnt(0)
	v_mad_u64_u32 v[5:6], s[24:25], v1, 24, v[7:8]
	v_and_b32_e32 v2, v2, v4
	v_mov_b32_e32 v1, v6
	v_mad_u64_u32 v[1:2], s[24:25], v2, 24, v[1:2]
	v_mov_b32_e32 v6, v1
	global_load_dwordx2 v[1:2], v[5:6], off glc
	s_waitcnt vmcnt(0)
	global_atomic_cmpswap_x2 v[5:6], v0, v[1:4], s[6:7] offset:24 glc
	s_waitcnt vmcnt(0)
	buffer_wbinvl1_vol
	v_cmp_eq_u64_e32 vcc, v[5:6], v[3:4]
	s_or_b64 s[22:23], vcc, s[22:23]
	s_andn2_b64 exec, exec, s[22:23]
	s_cbranch_execnz .LBB5_429
; %bb.430:
	s_or_b64 exec, exec, s[22:23]
.LBB5_431:
	s_or_b64 exec, exec, s[20:21]
.LBB5_432:
	s_or_b64 exec, exec, s[18:19]
	v_mov_b32_e32 v4, 0
	global_load_dwordx2 v[7:8], v4, s[6:7] offset:40
	global_load_dwordx4 v[0:3], v4, s[6:7]
	v_readfirstlane_b32 s18, v5
	v_readfirstlane_b32 s19, v6
	s_mov_b64 s[20:21], exec
	s_waitcnt vmcnt(1)
	v_readfirstlane_b32 s22, v7
	v_readfirstlane_b32 s23, v8
	s_and_b64 s[22:23], s[18:19], s[22:23]
	s_mul_i32 s15, s23, 24
	s_mul_hi_u32 s24, s22, 24
	s_mul_i32 s25, s22, 24
	s_add_i32 s15, s24, s15
	v_mov_b32_e32 v5, s15
	s_waitcnt vmcnt(0)
	v_add_co_u32_e32 v7, vcc, s25, v0
	v_addc_co_u32_e32 v8, vcc, v1, v5, vcc
	s_and_saveexec_b64 s[24:25], s[4:5]
	s_cbranch_execz .LBB5_434
; %bb.433:
	v_mov_b32_e32 v9, s20
	v_mov_b32_e32 v10, s21
	;; [unrolled: 1-line block ×4, first 2 shown]
	global_store_dwordx4 v[7:8], v[9:12], off offset:8
.LBB5_434:
	s_or_b64 exec, exec, s[24:25]
	s_lshl_b64 s[20:21], s[22:23], 12
	v_mov_b32_e32 v5, s21
	v_add_co_u32_e32 v2, vcc, s20, v2
	v_addc_co_u32_e32 v11, vcc, v3, v5, vcc
	s_mov_b32 s20, 0
	v_mov_b32_e32 v3, 33
	v_mov_b32_e32 v5, v4
	;; [unrolled: 1-line block ×3, first 2 shown]
	v_readfirstlane_b32 s24, v2
	v_readfirstlane_b32 s25, v11
	v_add_co_u32_e32 v9, vcc, v2, v31
	s_mov_b32 s21, s20
	s_mov_b32 s22, s20
	;; [unrolled: 1-line block ×3, first 2 shown]
	s_nop 0
	global_store_dwordx4 v31, v[3:6], s[24:25]
	v_mov_b32_e32 v2, s20
	v_addc_co_u32_e32 v10, vcc, 0, v11, vcc
	v_mov_b32_e32 v3, s21
	v_mov_b32_e32 v4, s22
	v_mov_b32_e32 v5, s23
	global_store_dwordx4 v31, v[2:5], s[24:25] offset:16
	global_store_dwordx4 v31, v[2:5], s[24:25] offset:32
	;; [unrolled: 1-line block ×3, first 2 shown]
	s_and_saveexec_b64 s[20:21], s[4:5]
	s_cbranch_execz .LBB5_442
; %bb.435:
	v_mov_b32_e32 v6, 0
	global_load_dwordx2 v[13:14], v6, s[6:7] offset:32 glc
	global_load_dwordx2 v[2:3], v6, s[6:7] offset:40
	v_mov_b32_e32 v11, s18
	v_mov_b32_e32 v12, s19
	s_waitcnt vmcnt(0)
	v_readfirstlane_b32 s22, v2
	v_readfirstlane_b32 s23, v3
	s_and_b64 s[22:23], s[22:23], s[18:19]
	s_mul_i32 s15, s23, 24
	s_mul_hi_u32 s23, s22, 24
	s_mul_i32 s22, s22, 24
	s_add_i32 s15, s23, s15
	v_mov_b32_e32 v2, s15
	v_add_co_u32_e32 v4, vcc, s22, v0
	v_addc_co_u32_e32 v5, vcc, v1, v2, vcc
	global_store_dwordx2 v[4:5], v[13:14], off
	s_waitcnt vmcnt(0)
	global_atomic_cmpswap_x2 v[2:3], v6, v[11:14], s[6:7] offset:32 glc
	s_waitcnt vmcnt(0)
	v_cmp_ne_u64_e32 vcc, v[2:3], v[13:14]
	s_and_saveexec_b64 s[22:23], vcc
	s_cbranch_execz .LBB5_438
; %bb.436:
	s_mov_b64 s[24:25], 0
.LBB5_437:                              ; =>This Inner Loop Header: Depth=1
	s_sleep 1
	global_store_dwordx2 v[4:5], v[2:3], off
	v_mov_b32_e32 v0, s18
	v_mov_b32_e32 v1, s19
	s_waitcnt vmcnt(0)
	global_atomic_cmpswap_x2 v[0:1], v6, v[0:3], s[6:7] offset:32 glc
	s_waitcnt vmcnt(0)
	v_cmp_eq_u64_e32 vcc, v[0:1], v[2:3]
	v_mov_b32_e32 v3, v1
	s_or_b64 s[24:25], vcc, s[24:25]
	v_mov_b32_e32 v2, v0
	s_andn2_b64 exec, exec, s[24:25]
	s_cbranch_execnz .LBB5_437
.LBB5_438:
	s_or_b64 exec, exec, s[22:23]
	v_mov_b32_e32 v3, 0
	global_load_dwordx2 v[0:1], v3, s[6:7] offset:16
	s_mov_b64 s[22:23], exec
	v_mbcnt_lo_u32_b32 v2, s22, 0
	v_mbcnt_hi_u32_b32 v2, s23, v2
	v_cmp_eq_u32_e32 vcc, 0, v2
	s_and_saveexec_b64 s[24:25], vcc
	s_cbranch_execz .LBB5_440
; %bb.439:
	s_bcnt1_i32_b64 s15, s[22:23]
	v_mov_b32_e32 v2, s15
	s_waitcnt vmcnt(0)
	global_atomic_add_x2 v[0:1], v[2:3], off offset:8
.LBB5_440:
	s_or_b64 exec, exec, s[24:25]
	s_waitcnt vmcnt(0)
	global_load_dwordx2 v[2:3], v[0:1], off offset:16
	s_waitcnt vmcnt(0)
	v_cmp_eq_u64_e32 vcc, 0, v[2:3]
	s_cbranch_vccnz .LBB5_442
; %bb.441:
	global_load_dword v0, v[0:1], off offset:24
	v_mov_b32_e32 v1, 0
	s_waitcnt vmcnt(0)
	global_store_dwordx2 v[2:3], v[0:1], off
	v_and_b32_e32 v0, 0xffffff, v0
	v_readfirstlane_b32 m0, v0
	s_sendmsg sendmsg(MSG_INTERRUPT)
.LBB5_442:
	s_or_b64 exec, exec, s[20:21]
	s_branch .LBB5_446
.LBB5_443:                              ;   in Loop: Header=BB5_446 Depth=1
	s_or_b64 exec, exec, s[20:21]
	v_readfirstlane_b32 s15, v0
	s_cmp_eq_u32 s15, 0
	s_cbranch_scc1 .LBB5_445
; %bb.444:                              ;   in Loop: Header=BB5_446 Depth=1
	s_sleep 1
	s_cbranch_execnz .LBB5_446
	s_branch .LBB5_448
.LBB5_445:
	s_branch .LBB5_448
.LBB5_446:                              ; =>This Inner Loop Header: Depth=1
	v_mov_b32_e32 v0, 1
	s_and_saveexec_b64 s[20:21], s[4:5]
	s_cbranch_execz .LBB5_443
; %bb.447:                              ;   in Loop: Header=BB5_446 Depth=1
	global_load_dword v0, v[7:8], off offset:20 glc
	s_waitcnt vmcnt(0)
	buffer_wbinvl1_vol
	v_and_b32_e32 v0, 1, v0
	s_branch .LBB5_443
.LBB5_448:
	global_load_dwordx2 v[4:5], v[9:10], off
	s_and_saveexec_b64 s[20:21], s[4:5]
	s_cbranch_execz .LBB5_451
; %bb.449:
	v_mov_b32_e32 v8, 0
	global_load_dwordx2 v[2:3], v8, s[6:7] offset:40
	global_load_dwordx2 v[9:10], v8, s[6:7] offset:24 glc
	global_load_dwordx2 v[6:7], v8, s[6:7]
	v_mov_b32_e32 v1, s19
	s_mov_b64 s[4:5], 0
	s_waitcnt vmcnt(2)
	v_add_co_u32_e32 v11, vcc, 1, v2
	v_addc_co_u32_e32 v12, vcc, 0, v3, vcc
	v_add_co_u32_e32 v0, vcc, s18, v11
	v_addc_co_u32_e32 v1, vcc, v12, v1, vcc
	v_cmp_eq_u64_e32 vcc, 0, v[0:1]
	v_cndmask_b32_e32 v1, v1, v12, vcc
	v_cndmask_b32_e32 v0, v0, v11, vcc
	v_and_b32_e32 v3, v1, v3
	v_and_b32_e32 v2, v0, v2
	v_mul_lo_u32 v3, v3, 24
	v_mul_hi_u32 v11, v2, 24
	v_mul_lo_u32 v12, v2, 24
	s_waitcnt vmcnt(1)
	v_mov_b32_e32 v2, v9
	v_add_u32_e32 v3, v11, v3
	s_waitcnt vmcnt(0)
	v_add_co_u32_e32 v6, vcc, v6, v12
	v_addc_co_u32_e32 v7, vcc, v7, v3, vcc
	global_store_dwordx2 v[6:7], v[9:10], off
	v_mov_b32_e32 v3, v10
	s_waitcnt vmcnt(0)
	global_atomic_cmpswap_x2 v[2:3], v8, v[0:3], s[6:7] offset:24 glc
	s_waitcnt vmcnt(0)
	v_cmp_ne_u64_e32 vcc, v[2:3], v[9:10]
	s_and_b64 exec, exec, vcc
	s_cbranch_execz .LBB5_451
.LBB5_450:                              ; =>This Inner Loop Header: Depth=1
	s_sleep 1
	global_store_dwordx2 v[6:7], v[2:3], off
	s_waitcnt vmcnt(0)
	global_atomic_cmpswap_x2 v[9:10], v8, v[0:3], s[6:7] offset:24 glc
	s_waitcnt vmcnt(0)
	v_cmp_eq_u64_e32 vcc, v[9:10], v[2:3]
	v_mov_b32_e32 v2, v9
	s_or_b64 s[4:5], vcc, s[4:5]
	v_mov_b32_e32 v3, v10
	s_andn2_b64 exec, exec, s[4:5]
	s_cbranch_execnz .LBB5_450
.LBB5_451:
	s_or_b64 exec, exec, s[20:21]
	s_and_b64 vcc, exec, s[10:11]
	s_cbranch_vccz .LBB5_536
; %bb.452:
	s_waitcnt vmcnt(0)
	v_and_b32_e32 v29, 2, v4
	v_mov_b32_e32 v26, 0
	v_and_b32_e32 v0, -3, v4
	v_mov_b32_e32 v1, v5
	s_mov_b64 s[20:21], 3
	v_mov_b32_e32 v8, 2
	v_mov_b32_e32 v9, 1
	s_getpc_b64 s[18:19]
	s_add_u32 s18, s18, .str.5@rel32@lo+4
	s_addc_u32 s19, s19, .str.5@rel32@hi+12
	s_branch .LBB5_454
.LBB5_453:                              ;   in Loop: Header=BB5_454 Depth=1
	s_or_b64 exec, exec, s[26:27]
	s_sub_u32 s20, s20, s22
	s_subb_u32 s21, s21, s23
	s_add_u32 s18, s18, s22
	s_addc_u32 s19, s19, s23
	s_cmp_lg_u64 s[20:21], 0
	s_cbranch_scc0 .LBB5_535
.LBB5_454:                              ; =>This Loop Header: Depth=1
                                        ;     Child Loop BB5_457 Depth 2
                                        ;     Child Loop BB5_464 Depth 2
	;; [unrolled: 1-line block ×11, first 2 shown]
	v_cmp_lt_u64_e64 s[4:5], s[20:21], 56
	v_cmp_gt_u64_e64 s[24:25], s[20:21], 7
	s_and_b64 s[4:5], s[4:5], exec
	s_cselect_b32 s23, s21, 0
	s_cselect_b32 s22, s20, 56
	s_and_b64 vcc, exec, s[24:25]
	s_cbranch_vccnz .LBB5_459
; %bb.455:                              ;   in Loop: Header=BB5_454 Depth=1
	s_waitcnt vmcnt(0)
	v_mov_b32_e32 v2, 0
	s_cmp_eq_u64 s[20:21], 0
	v_mov_b32_e32 v3, 0
	s_mov_b64 s[4:5], 0
	s_cbranch_scc1 .LBB5_458
; %bb.456:                              ;   in Loop: Header=BB5_454 Depth=1
	v_mov_b32_e32 v2, 0
	s_lshl_b64 s[24:25], s[22:23], 3
	s_mov_b64 s[26:27], 0
	v_mov_b32_e32 v3, 0
	s_mov_b64 s[28:29], s[18:19]
.LBB5_457:                              ;   Parent Loop BB5_454 Depth=1
                                        ; =>  This Inner Loop Header: Depth=2
	global_load_ubyte v6, v26, s[28:29]
	s_waitcnt vmcnt(0)
	v_and_b32_e32 v25, 0xffff, v6
	v_lshlrev_b64 v[6:7], s26, v[25:26]
	s_add_u32 s26, s26, 8
	s_addc_u32 s27, s27, 0
	s_add_u32 s28, s28, 1
	s_addc_u32 s29, s29, 0
	v_or_b32_e32 v2, v6, v2
	s_cmp_lg_u32 s24, s26
	v_or_b32_e32 v3, v7, v3
	s_cbranch_scc1 .LBB5_457
.LBB5_458:                              ;   in Loop: Header=BB5_454 Depth=1
	s_mov_b32 s15, 0
	s_andn2_b64 vcc, exec, s[4:5]
	s_mov_b64 s[4:5], s[18:19]
	s_cbranch_vccz .LBB5_460
	s_branch .LBB5_461
.LBB5_459:                              ;   in Loop: Header=BB5_454 Depth=1
                                        ; implicit-def: $vgpr2_vgpr3
                                        ; implicit-def: $sgpr15
	s_mov_b64 s[4:5], s[18:19]
.LBB5_460:                              ;   in Loop: Header=BB5_454 Depth=1
	global_load_dwordx2 v[2:3], v26, s[18:19]
	s_add_i32 s15, s22, -8
	s_add_u32 s4, s18, 8
	s_addc_u32 s5, s19, 0
.LBB5_461:                              ;   in Loop: Header=BB5_454 Depth=1
	s_cmp_gt_u32 s15, 7
	s_cbranch_scc1 .LBB5_465
; %bb.462:                              ;   in Loop: Header=BB5_454 Depth=1
	s_cmp_eq_u32 s15, 0
	s_cbranch_scc1 .LBB5_466
; %bb.463:                              ;   in Loop: Header=BB5_454 Depth=1
	v_mov_b32_e32 v10, 0
	s_mov_b64 s[24:25], 0
	v_mov_b32_e32 v11, 0
	s_mov_b64 s[26:27], 0
.LBB5_464:                              ;   Parent Loop BB5_454 Depth=1
                                        ; =>  This Inner Loop Header: Depth=2
	s_add_u32 s28, s4, s26
	s_addc_u32 s29, s5, s27
	global_load_ubyte v6, v26, s[28:29]
	s_add_u32 s26, s26, 1
	s_addc_u32 s27, s27, 0
	s_waitcnt vmcnt(0)
	v_and_b32_e32 v25, 0xffff, v6
	v_lshlrev_b64 v[6:7], s24, v[25:26]
	s_add_u32 s24, s24, 8
	s_addc_u32 s25, s25, 0
	v_or_b32_e32 v10, v6, v10
	s_cmp_lg_u32 s15, s26
	v_or_b32_e32 v11, v7, v11
	s_cbranch_scc1 .LBB5_464
	s_branch .LBB5_467
.LBB5_465:                              ;   in Loop: Header=BB5_454 Depth=1
                                        ; implicit-def: $vgpr10_vgpr11
                                        ; implicit-def: $sgpr28
	s_branch .LBB5_468
.LBB5_466:                              ;   in Loop: Header=BB5_454 Depth=1
	v_mov_b32_e32 v10, 0
	v_mov_b32_e32 v11, 0
.LBB5_467:                              ;   in Loop: Header=BB5_454 Depth=1
	s_mov_b32 s28, 0
	s_cbranch_execnz .LBB5_469
.LBB5_468:                              ;   in Loop: Header=BB5_454 Depth=1
	global_load_dwordx2 v[10:11], v26, s[4:5]
	s_add_i32 s28, s15, -8
	s_add_u32 s4, s4, 8
	s_addc_u32 s5, s5, 0
.LBB5_469:                              ;   in Loop: Header=BB5_454 Depth=1
	s_cmp_gt_u32 s28, 7
	s_cbranch_scc1 .LBB5_473
; %bb.470:                              ;   in Loop: Header=BB5_454 Depth=1
	s_cmp_eq_u32 s28, 0
	s_cbranch_scc1 .LBB5_474
; %bb.471:                              ;   in Loop: Header=BB5_454 Depth=1
	v_mov_b32_e32 v12, 0
	s_mov_b64 s[24:25], 0
	v_mov_b32_e32 v13, 0
	s_mov_b64 s[26:27], 0
.LBB5_472:                              ;   Parent Loop BB5_454 Depth=1
                                        ; =>  This Inner Loop Header: Depth=2
	s_add_u32 vcc_lo, s4, s26
	s_addc_u32 vcc_hi, s5, s27
	global_load_ubyte v6, v26, vcc
	s_add_u32 s26, s26, 1
	s_addc_u32 s27, s27, 0
	s_waitcnt vmcnt(0)
	v_and_b32_e32 v25, 0xffff, v6
	v_lshlrev_b64 v[6:7], s24, v[25:26]
	s_add_u32 s24, s24, 8
	s_addc_u32 s25, s25, 0
	v_or_b32_e32 v12, v6, v12
	s_cmp_lg_u32 s28, s26
	v_or_b32_e32 v13, v7, v13
	s_cbranch_scc1 .LBB5_472
	s_branch .LBB5_475
.LBB5_473:                              ;   in Loop: Header=BB5_454 Depth=1
                                        ; implicit-def: $sgpr15
	s_branch .LBB5_476
.LBB5_474:                              ;   in Loop: Header=BB5_454 Depth=1
	v_mov_b32_e32 v12, 0
	v_mov_b32_e32 v13, 0
.LBB5_475:                              ;   in Loop: Header=BB5_454 Depth=1
	s_mov_b32 s15, 0
	s_cbranch_execnz .LBB5_477
.LBB5_476:                              ;   in Loop: Header=BB5_454 Depth=1
	global_load_dwordx2 v[12:13], v26, s[4:5]
	s_add_i32 s15, s28, -8
	s_add_u32 s4, s4, 8
	s_addc_u32 s5, s5, 0
.LBB5_477:                              ;   in Loop: Header=BB5_454 Depth=1
	s_cmp_gt_u32 s15, 7
	s_cbranch_scc1 .LBB5_481
; %bb.478:                              ;   in Loop: Header=BB5_454 Depth=1
	s_cmp_eq_u32 s15, 0
	s_cbranch_scc1 .LBB5_482
; %bb.479:                              ;   in Loop: Header=BB5_454 Depth=1
	v_mov_b32_e32 v14, 0
	s_mov_b64 s[24:25], 0
	v_mov_b32_e32 v15, 0
	s_mov_b64 s[26:27], 0
.LBB5_480:                              ;   Parent Loop BB5_454 Depth=1
                                        ; =>  This Inner Loop Header: Depth=2
	s_add_u32 s28, s4, s26
	s_addc_u32 s29, s5, s27
	global_load_ubyte v6, v26, s[28:29]
	s_add_u32 s26, s26, 1
	s_addc_u32 s27, s27, 0
	s_waitcnt vmcnt(0)
	v_and_b32_e32 v25, 0xffff, v6
	v_lshlrev_b64 v[6:7], s24, v[25:26]
	s_add_u32 s24, s24, 8
	s_addc_u32 s25, s25, 0
	v_or_b32_e32 v14, v6, v14
	s_cmp_lg_u32 s15, s26
	v_or_b32_e32 v15, v7, v15
	s_cbranch_scc1 .LBB5_480
	s_branch .LBB5_483
.LBB5_481:                              ;   in Loop: Header=BB5_454 Depth=1
                                        ; implicit-def: $vgpr14_vgpr15
                                        ; implicit-def: $sgpr28
	s_branch .LBB5_484
.LBB5_482:                              ;   in Loop: Header=BB5_454 Depth=1
	v_mov_b32_e32 v14, 0
	v_mov_b32_e32 v15, 0
.LBB5_483:                              ;   in Loop: Header=BB5_454 Depth=1
	s_mov_b32 s28, 0
	s_cbranch_execnz .LBB5_485
.LBB5_484:                              ;   in Loop: Header=BB5_454 Depth=1
	global_load_dwordx2 v[14:15], v26, s[4:5]
	s_add_i32 s28, s15, -8
	s_add_u32 s4, s4, 8
	s_addc_u32 s5, s5, 0
.LBB5_485:                              ;   in Loop: Header=BB5_454 Depth=1
	s_cmp_gt_u32 s28, 7
	s_cbranch_scc1 .LBB5_489
; %bb.486:                              ;   in Loop: Header=BB5_454 Depth=1
	s_cmp_eq_u32 s28, 0
	s_cbranch_scc1 .LBB5_490
; %bb.487:                              ;   in Loop: Header=BB5_454 Depth=1
	v_mov_b32_e32 v16, 0
	s_mov_b64 s[24:25], 0
	v_mov_b32_e32 v17, 0
	s_mov_b64 s[26:27], 0
.LBB5_488:                              ;   Parent Loop BB5_454 Depth=1
                                        ; =>  This Inner Loop Header: Depth=2
	s_add_u32 vcc_lo, s4, s26
	s_addc_u32 vcc_hi, s5, s27
	global_load_ubyte v6, v26, vcc
	s_add_u32 s26, s26, 1
	s_addc_u32 s27, s27, 0
	s_waitcnt vmcnt(0)
	v_and_b32_e32 v25, 0xffff, v6
	v_lshlrev_b64 v[6:7], s24, v[25:26]
	s_add_u32 s24, s24, 8
	s_addc_u32 s25, s25, 0
	v_or_b32_e32 v16, v6, v16
	s_cmp_lg_u32 s28, s26
	v_or_b32_e32 v17, v7, v17
	s_cbranch_scc1 .LBB5_488
	s_branch .LBB5_491
.LBB5_489:                              ;   in Loop: Header=BB5_454 Depth=1
                                        ; implicit-def: $sgpr15
	s_branch .LBB5_492
.LBB5_490:                              ;   in Loop: Header=BB5_454 Depth=1
	v_mov_b32_e32 v16, 0
	v_mov_b32_e32 v17, 0
.LBB5_491:                              ;   in Loop: Header=BB5_454 Depth=1
	s_mov_b32 s15, 0
	s_cbranch_execnz .LBB5_493
.LBB5_492:                              ;   in Loop: Header=BB5_454 Depth=1
	global_load_dwordx2 v[16:17], v26, s[4:5]
	s_add_i32 s15, s28, -8
	s_add_u32 s4, s4, 8
	s_addc_u32 s5, s5, 0
.LBB5_493:                              ;   in Loop: Header=BB5_454 Depth=1
	s_cmp_gt_u32 s15, 7
	s_cbranch_scc1 .LBB5_497
; %bb.494:                              ;   in Loop: Header=BB5_454 Depth=1
	s_cmp_eq_u32 s15, 0
	s_cbranch_scc1 .LBB5_498
; %bb.495:                              ;   in Loop: Header=BB5_454 Depth=1
	v_mov_b32_e32 v18, 0
	s_mov_b64 s[24:25], 0
	v_mov_b32_e32 v19, 0
	s_mov_b64 s[26:27], 0
.LBB5_496:                              ;   Parent Loop BB5_454 Depth=1
                                        ; =>  This Inner Loop Header: Depth=2
	s_add_u32 s28, s4, s26
	s_addc_u32 s29, s5, s27
	global_load_ubyte v6, v26, s[28:29]
	s_add_u32 s26, s26, 1
	s_addc_u32 s27, s27, 0
	s_waitcnt vmcnt(0)
	v_and_b32_e32 v25, 0xffff, v6
	v_lshlrev_b64 v[6:7], s24, v[25:26]
	s_add_u32 s24, s24, 8
	s_addc_u32 s25, s25, 0
	v_or_b32_e32 v18, v6, v18
	s_cmp_lg_u32 s15, s26
	v_or_b32_e32 v19, v7, v19
	s_cbranch_scc1 .LBB5_496
	s_branch .LBB5_499
.LBB5_497:                              ;   in Loop: Header=BB5_454 Depth=1
                                        ; implicit-def: $vgpr18_vgpr19
                                        ; implicit-def: $sgpr28
	s_branch .LBB5_500
.LBB5_498:                              ;   in Loop: Header=BB5_454 Depth=1
	v_mov_b32_e32 v18, 0
	v_mov_b32_e32 v19, 0
.LBB5_499:                              ;   in Loop: Header=BB5_454 Depth=1
	s_mov_b32 s28, 0
	s_cbranch_execnz .LBB5_501
.LBB5_500:                              ;   in Loop: Header=BB5_454 Depth=1
	global_load_dwordx2 v[18:19], v26, s[4:5]
	s_add_i32 s28, s15, -8
	s_add_u32 s4, s4, 8
	s_addc_u32 s5, s5, 0
.LBB5_501:                              ;   in Loop: Header=BB5_454 Depth=1
	s_cmp_gt_u32 s28, 7
	s_cbranch_scc1 .LBB5_505
; %bb.502:                              ;   in Loop: Header=BB5_454 Depth=1
	s_cmp_eq_u32 s28, 0
	s_cbranch_scc1 .LBB5_506
; %bb.503:                              ;   in Loop: Header=BB5_454 Depth=1
	v_mov_b32_e32 v20, 0
	s_mov_b64 s[24:25], 0
	v_mov_b32_e32 v21, 0
	s_mov_b64 s[26:27], s[4:5]
.LBB5_504:                              ;   Parent Loop BB5_454 Depth=1
                                        ; =>  This Inner Loop Header: Depth=2
	global_load_ubyte v6, v26, s[26:27]
	s_add_i32 s28, s28, -1
	s_waitcnt vmcnt(0)
	v_and_b32_e32 v25, 0xffff, v6
	v_lshlrev_b64 v[6:7], s24, v[25:26]
	s_add_u32 s24, s24, 8
	s_addc_u32 s25, s25, 0
	s_add_u32 s26, s26, 1
	s_addc_u32 s27, s27, 0
	v_or_b32_e32 v20, v6, v20
	s_cmp_lg_u32 s28, 0
	v_or_b32_e32 v21, v7, v21
	s_cbranch_scc1 .LBB5_504
	s_branch .LBB5_507
.LBB5_505:                              ;   in Loop: Header=BB5_454 Depth=1
	s_branch .LBB5_508
.LBB5_506:                              ;   in Loop: Header=BB5_454 Depth=1
	v_mov_b32_e32 v20, 0
	v_mov_b32_e32 v21, 0
.LBB5_507:                              ;   in Loop: Header=BB5_454 Depth=1
	s_cbranch_execnz .LBB5_509
.LBB5_508:                              ;   in Loop: Header=BB5_454 Depth=1
	global_load_dwordx2 v[20:21], v26, s[4:5]
.LBB5_509:                              ;   in Loop: Header=BB5_454 Depth=1
	v_readfirstlane_b32 s4, v32
	v_mov_b32_e32 v6, 0
	v_mov_b32_e32 v7, 0
	v_cmp_eq_u32_e64 s[4:5], s4, v32
	s_and_saveexec_b64 s[24:25], s[4:5]
	s_cbranch_execz .LBB5_515
; %bb.510:                              ;   in Loop: Header=BB5_454 Depth=1
	global_load_dwordx2 v[24:25], v26, s[6:7] offset:24 glc
	s_waitcnt vmcnt(0)
	buffer_wbinvl1_vol
	global_load_dwordx2 v[6:7], v26, s[6:7] offset:40
	global_load_dwordx2 v[22:23], v26, s[6:7]
	s_waitcnt vmcnt(1)
	v_and_b32_e32 v6, v6, v24
	v_and_b32_e32 v7, v7, v25
	v_mul_lo_u32 v7, v7, 24
	v_mul_hi_u32 v27, v6, 24
	v_mul_lo_u32 v6, v6, 24
	v_add_u32_e32 v7, v27, v7
	s_waitcnt vmcnt(0)
	v_add_co_u32_e32 v6, vcc, v22, v6
	v_addc_co_u32_e32 v7, vcc, v23, v7, vcc
	global_load_dwordx2 v[22:23], v[6:7], off glc
	s_waitcnt vmcnt(0)
	global_atomic_cmpswap_x2 v[6:7], v26, v[22:25], s[6:7] offset:24 glc
	s_waitcnt vmcnt(0)
	buffer_wbinvl1_vol
	v_cmp_ne_u64_e32 vcc, v[6:7], v[24:25]
	s_and_saveexec_b64 s[26:27], vcc
	s_cbranch_execz .LBB5_514
; %bb.511:                              ;   in Loop: Header=BB5_454 Depth=1
	s_mov_b64 s[28:29], 0
.LBB5_512:                              ;   Parent Loop BB5_454 Depth=1
                                        ; =>  This Inner Loop Header: Depth=2
	s_sleep 1
	global_load_dwordx2 v[22:23], v26, s[6:7] offset:40
	global_load_dwordx2 v[27:28], v26, s[6:7]
	v_mov_b32_e32 v25, v7
	v_mov_b32_e32 v24, v6
	s_waitcnt vmcnt(1)
	v_and_b32_e32 v6, v22, v24
	s_waitcnt vmcnt(0)
	v_mad_u64_u32 v[6:7], vcc, v6, 24, v[27:28]
	v_and_b32_e32 v22, v23, v25
	v_mad_u64_u32 v[22:23], vcc, v22, 24, v[7:8]
	v_mov_b32_e32 v7, v22
	global_load_dwordx2 v[22:23], v[6:7], off glc
	s_waitcnt vmcnt(0)
	global_atomic_cmpswap_x2 v[6:7], v26, v[22:25], s[6:7] offset:24 glc
	s_waitcnt vmcnt(0)
	buffer_wbinvl1_vol
	v_cmp_eq_u64_e32 vcc, v[6:7], v[24:25]
	s_or_b64 s[28:29], vcc, s[28:29]
	s_andn2_b64 exec, exec, s[28:29]
	s_cbranch_execnz .LBB5_512
; %bb.513:                              ;   in Loop: Header=BB5_454 Depth=1
	s_or_b64 exec, exec, s[28:29]
.LBB5_514:                              ;   in Loop: Header=BB5_454 Depth=1
	s_or_b64 exec, exec, s[26:27]
.LBB5_515:                              ;   in Loop: Header=BB5_454 Depth=1
	s_or_b64 exec, exec, s[24:25]
	global_load_dwordx2 v[27:28], v26, s[6:7] offset:40
	global_load_dwordx4 v[22:25], v26, s[6:7]
	v_readfirstlane_b32 s24, v6
	v_readfirstlane_b32 s25, v7
	s_mov_b64 s[26:27], exec
	s_waitcnt vmcnt(1)
	v_readfirstlane_b32 s28, v27
	v_readfirstlane_b32 s29, v28
	s_and_b64 s[28:29], s[24:25], s[28:29]
	s_mul_i32 s15, s29, 24
	s_mul_hi_u32 vcc_lo, s28, 24
	s_mul_i32 vcc_hi, s28, 24
	s_add_i32 s15, vcc_lo, s15
	v_mov_b32_e32 v6, s15
	s_waitcnt vmcnt(0)
	v_add_co_u32_e32 v27, vcc, vcc_hi, v22
	v_addc_co_u32_e32 v28, vcc, v23, v6, vcc
	s_and_saveexec_b64 vcc, s[4:5]
	s_cbranch_execz .LBB5_517
; %bb.516:                              ;   in Loop: Header=BB5_454 Depth=1
	v_mov_b32_e32 v6, s26
	v_mov_b32_e32 v7, s27
	global_store_dwordx4 v[27:28], v[6:9], off offset:8
.LBB5_517:                              ;   in Loop: Header=BB5_454 Depth=1
	s_or_b64 exec, exec, vcc
	s_lshl_b64 s[26:27], s[28:29], 12
	v_mov_b32_e32 v6, s27
	v_add_co_u32_e32 v24, vcc, s26, v24
	v_addc_co_u32_e32 v30, vcc, v25, v6, vcc
	v_cmp_gt_u64_e64 vcc, s[20:21], 56
	v_or_b32_e32 v7, v0, v29
	s_lshl_b32 s15, s22, 2
	v_cndmask_b32_e32 v0, v7, v0, vcc
	s_add_i32 s15, s15, 28
	v_or_b32_e32 v6, 0, v1
	s_and_b32 s15, s15, 0x1e0
	v_and_b32_e32 v0, 0xffffff1f, v0
	v_cndmask_b32_e32 v1, v6, v1, vcc
	v_or_b32_e32 v0, s15, v0
	v_readfirstlane_b32 s26, v24
	v_readfirstlane_b32 s27, v30
	s_nop 4
	global_store_dwordx4 v31, v[0:3], s[26:27]
	global_store_dwordx4 v31, v[10:13], s[26:27] offset:16
	global_store_dwordx4 v31, v[14:17], s[26:27] offset:32
	;; [unrolled: 1-line block ×3, first 2 shown]
	s_and_saveexec_b64 s[26:27], s[4:5]
	s_cbranch_execz .LBB5_525
; %bb.518:                              ;   in Loop: Header=BB5_454 Depth=1
	global_load_dwordx2 v[12:13], v26, s[6:7] offset:32 glc
	global_load_dwordx2 v[0:1], v26, s[6:7] offset:40
	v_mov_b32_e32 v10, s24
	v_mov_b32_e32 v11, s25
	s_waitcnt vmcnt(0)
	v_readfirstlane_b32 s28, v0
	v_readfirstlane_b32 s29, v1
	s_and_b64 s[28:29], s[28:29], s[24:25]
	s_mul_i32 s15, s29, 24
	s_mul_hi_u32 s29, s28, 24
	s_mul_i32 s28, s28, 24
	s_add_i32 s15, s29, s15
	v_mov_b32_e32 v0, s15
	v_add_co_u32_e32 v6, vcc, s28, v22
	v_addc_co_u32_e32 v7, vcc, v23, v0, vcc
	global_store_dwordx2 v[6:7], v[12:13], off
	s_waitcnt vmcnt(0)
	global_atomic_cmpswap_x2 v[2:3], v26, v[10:13], s[6:7] offset:32 glc
	s_waitcnt vmcnt(0)
	v_cmp_ne_u64_e32 vcc, v[2:3], v[12:13]
	s_and_saveexec_b64 s[28:29], vcc
	s_cbranch_execz .LBB5_521
; %bb.519:                              ;   in Loop: Header=BB5_454 Depth=1
	s_mov_b64 s[30:31], 0
.LBB5_520:                              ;   Parent Loop BB5_454 Depth=1
                                        ; =>  This Inner Loop Header: Depth=2
	s_sleep 1
	global_store_dwordx2 v[6:7], v[2:3], off
	v_mov_b32_e32 v0, s24
	v_mov_b32_e32 v1, s25
	s_waitcnt vmcnt(0)
	global_atomic_cmpswap_x2 v[0:1], v26, v[0:3], s[6:7] offset:32 glc
	s_waitcnt vmcnt(0)
	v_cmp_eq_u64_e32 vcc, v[0:1], v[2:3]
	v_mov_b32_e32 v3, v1
	s_or_b64 s[30:31], vcc, s[30:31]
	v_mov_b32_e32 v2, v0
	s_andn2_b64 exec, exec, s[30:31]
	s_cbranch_execnz .LBB5_520
.LBB5_521:                              ;   in Loop: Header=BB5_454 Depth=1
	s_or_b64 exec, exec, s[28:29]
	global_load_dwordx2 v[0:1], v26, s[6:7] offset:16
	s_mov_b64 s[30:31], exec
	v_mbcnt_lo_u32_b32 v2, s30, 0
	v_mbcnt_hi_u32_b32 v2, s31, v2
	v_cmp_eq_u32_e32 vcc, 0, v2
	s_and_saveexec_b64 s[28:29], vcc
	s_cbranch_execz .LBB5_523
; %bb.522:                              ;   in Loop: Header=BB5_454 Depth=1
	s_bcnt1_i32_b64 s15, s[30:31]
	v_mov_b32_e32 v25, s15
	s_waitcnt vmcnt(0)
	global_atomic_add_x2 v[0:1], v[25:26], off offset:8
.LBB5_523:                              ;   in Loop: Header=BB5_454 Depth=1
	s_or_b64 exec, exec, s[28:29]
	s_waitcnt vmcnt(0)
	global_load_dwordx2 v[2:3], v[0:1], off offset:16
	s_waitcnt vmcnt(0)
	v_cmp_eq_u64_e32 vcc, 0, v[2:3]
	s_cbranch_vccnz .LBB5_525
; %bb.524:                              ;   in Loop: Header=BB5_454 Depth=1
	global_load_dword v25, v[0:1], off offset:24
	s_waitcnt vmcnt(0)
	v_and_b32_e32 v0, 0xffffff, v25
	v_readfirstlane_b32 m0, v0
	global_store_dwordx2 v[2:3], v[25:26], off
	s_sendmsg sendmsg(MSG_INTERRUPT)
.LBB5_525:                              ;   in Loop: Header=BB5_454 Depth=1
	s_or_b64 exec, exec, s[26:27]
	v_add_co_u32_e32 v0, vcc, v24, v31
	v_addc_co_u32_e32 v1, vcc, 0, v30, vcc
	s_branch .LBB5_529
.LBB5_526:                              ;   in Loop: Header=BB5_529 Depth=2
	s_or_b64 exec, exec, s[26:27]
	v_readfirstlane_b32 s15, v2
	s_cmp_eq_u32 s15, 0
	s_cbranch_scc1 .LBB5_528
; %bb.527:                              ;   in Loop: Header=BB5_529 Depth=2
	s_sleep 1
	s_cbranch_execnz .LBB5_529
	s_branch .LBB5_531
.LBB5_528:                              ;   in Loop: Header=BB5_454 Depth=1
	s_branch .LBB5_531
.LBB5_529:                              ;   Parent Loop BB5_454 Depth=1
                                        ; =>  This Inner Loop Header: Depth=2
	v_mov_b32_e32 v2, 1
	s_and_saveexec_b64 s[26:27], s[4:5]
	s_cbranch_execz .LBB5_526
; %bb.530:                              ;   in Loop: Header=BB5_529 Depth=2
	global_load_dword v2, v[27:28], off offset:20 glc
	s_waitcnt vmcnt(0)
	buffer_wbinvl1_vol
	v_and_b32_e32 v2, 1, v2
	s_branch .LBB5_526
.LBB5_531:                              ;   in Loop: Header=BB5_454 Depth=1
	global_load_dwordx4 v[0:3], v[0:1], off
	s_and_saveexec_b64 s[26:27], s[4:5]
	s_cbranch_execz .LBB5_453
; %bb.532:                              ;   in Loop: Header=BB5_454 Depth=1
	global_load_dwordx2 v[2:3], v26, s[6:7] offset:40
	global_load_dwordx2 v[6:7], v26, s[6:7] offset:24 glc
	global_load_dwordx2 v[13:14], v26, s[6:7]
	v_mov_b32_e32 v11, s25
	s_waitcnt vmcnt(2)
	v_add_co_u32_e32 v12, vcc, 1, v2
	v_addc_co_u32_e32 v15, vcc, 0, v3, vcc
	v_add_co_u32_e32 v10, vcc, s24, v12
	v_addc_co_u32_e32 v11, vcc, v15, v11, vcc
	v_cmp_eq_u64_e32 vcc, 0, v[10:11]
	v_cndmask_b32_e32 v11, v11, v15, vcc
	v_cndmask_b32_e32 v10, v10, v12, vcc
	v_and_b32_e32 v3, v11, v3
	v_and_b32_e32 v2, v10, v2
	v_mul_lo_u32 v3, v3, 24
	v_mul_hi_u32 v15, v2, 24
	v_mul_lo_u32 v2, v2, 24
	s_waitcnt vmcnt(1)
	v_mov_b32_e32 v12, v6
	v_add_u32_e32 v3, v15, v3
	s_waitcnt vmcnt(0)
	v_add_co_u32_e32 v2, vcc, v13, v2
	v_addc_co_u32_e32 v3, vcc, v14, v3, vcc
	global_store_dwordx2 v[2:3], v[6:7], off
	v_mov_b32_e32 v13, v7
	s_waitcnt vmcnt(0)
	global_atomic_cmpswap_x2 v[12:13], v26, v[10:13], s[6:7] offset:24 glc
	s_waitcnt vmcnt(0)
	v_cmp_ne_u64_e32 vcc, v[12:13], v[6:7]
	s_and_b64 exec, exec, vcc
	s_cbranch_execz .LBB5_453
; %bb.533:                              ;   in Loop: Header=BB5_454 Depth=1
	s_mov_b64 s[4:5], 0
.LBB5_534:                              ;   Parent Loop BB5_454 Depth=1
                                        ; =>  This Inner Loop Header: Depth=2
	s_sleep 1
	global_store_dwordx2 v[2:3], v[12:13], off
	s_waitcnt vmcnt(0)
	global_atomic_cmpswap_x2 v[6:7], v26, v[10:13], s[6:7] offset:24 glc
	s_waitcnt vmcnt(0)
	v_cmp_eq_u64_e32 vcc, v[6:7], v[12:13]
	v_mov_b32_e32 v13, v7
	s_or_b64 s[4:5], vcc, s[4:5]
	v_mov_b32_e32 v12, v6
	s_andn2_b64 exec, exec, s[4:5]
	s_cbranch_execnz .LBB5_534
	s_branch .LBB5_453
.LBB5_535:
	s_branch .LBB5_563
.LBB5_536:
                                        ; implicit-def: $vgpr0_vgpr1
	s_cbranch_execz .LBB5_563
; %bb.537:
	v_readfirstlane_b32 s4, v32
	v_mov_b32_e32 v7, 0
	v_mov_b32_e32 v8, 0
	v_cmp_eq_u32_e64 s[4:5], s4, v32
	s_and_saveexec_b64 s[18:19], s[4:5]
	s_cbranch_execz .LBB5_543
; %bb.538:
	s_waitcnt vmcnt(0)
	v_mov_b32_e32 v0, 0
	global_load_dwordx2 v[9:10], v0, s[6:7] offset:24 glc
	s_waitcnt vmcnt(0)
	buffer_wbinvl1_vol
	global_load_dwordx2 v[1:2], v0, s[6:7] offset:40
	global_load_dwordx2 v[6:7], v0, s[6:7]
	s_waitcnt vmcnt(1)
	v_and_b32_e32 v1, v1, v9
	v_and_b32_e32 v2, v2, v10
	v_mul_lo_u32 v2, v2, 24
	v_mul_hi_u32 v3, v1, 24
	v_mul_lo_u32 v1, v1, 24
	v_add_u32_e32 v2, v3, v2
	s_waitcnt vmcnt(0)
	v_add_co_u32_e32 v1, vcc, v6, v1
	v_addc_co_u32_e32 v2, vcc, v7, v2, vcc
	global_load_dwordx2 v[7:8], v[1:2], off glc
	s_waitcnt vmcnt(0)
	global_atomic_cmpswap_x2 v[7:8], v0, v[7:10], s[6:7] offset:24 glc
	s_waitcnt vmcnt(0)
	buffer_wbinvl1_vol
	v_cmp_ne_u64_e32 vcc, v[7:8], v[9:10]
	s_and_saveexec_b64 s[20:21], vcc
	s_cbranch_execz .LBB5_542
; %bb.539:
	s_mov_b64 s[22:23], 0
.LBB5_540:                              ; =>This Inner Loop Header: Depth=1
	s_sleep 1
	global_load_dwordx2 v[1:2], v0, s[6:7] offset:40
	global_load_dwordx2 v[11:12], v0, s[6:7]
	v_mov_b32_e32 v10, v8
	v_mov_b32_e32 v9, v7
	s_waitcnt vmcnt(1)
	v_and_b32_e32 v1, v1, v9
	s_waitcnt vmcnt(0)
	v_mad_u64_u32 v[6:7], s[24:25], v1, 24, v[11:12]
	v_and_b32_e32 v2, v2, v10
	v_mov_b32_e32 v1, v7
	v_mad_u64_u32 v[1:2], s[24:25], v2, 24, v[1:2]
	v_mov_b32_e32 v7, v1
	global_load_dwordx2 v[7:8], v[6:7], off glc
	s_waitcnt vmcnt(0)
	global_atomic_cmpswap_x2 v[7:8], v0, v[7:10], s[6:7] offset:24 glc
	s_waitcnt vmcnt(0)
	buffer_wbinvl1_vol
	v_cmp_eq_u64_e32 vcc, v[7:8], v[9:10]
	s_or_b64 s[22:23], vcc, s[22:23]
	s_andn2_b64 exec, exec, s[22:23]
	s_cbranch_execnz .LBB5_540
; %bb.541:
	s_or_b64 exec, exec, s[22:23]
.LBB5_542:
	s_or_b64 exec, exec, s[20:21]
.LBB5_543:
	s_or_b64 exec, exec, s[18:19]
	v_mov_b32_e32 v6, 0
	global_load_dwordx2 v[9:10], v6, s[6:7] offset:40
	global_load_dwordx4 v[0:3], v6, s[6:7]
	v_readfirstlane_b32 s18, v7
	v_readfirstlane_b32 s19, v8
	s_mov_b64 s[20:21], exec
	s_waitcnt vmcnt(1)
	v_readfirstlane_b32 s22, v9
	v_readfirstlane_b32 s23, v10
	s_and_b64 s[22:23], s[18:19], s[22:23]
	s_mul_i32 s15, s23, 24
	s_mul_hi_u32 s24, s22, 24
	s_mul_i32 s25, s22, 24
	s_add_i32 s15, s24, s15
	v_mov_b32_e32 v7, s15
	s_waitcnt vmcnt(0)
	v_add_co_u32_e32 v8, vcc, s25, v0
	v_addc_co_u32_e32 v9, vcc, v1, v7, vcc
	s_and_saveexec_b64 s[24:25], s[4:5]
	s_cbranch_execz .LBB5_545
; %bb.544:
	v_mov_b32_e32 v10, s20
	v_mov_b32_e32 v11, s21
	;; [unrolled: 1-line block ×4, first 2 shown]
	global_store_dwordx4 v[8:9], v[10:13], off offset:8
.LBB5_545:
	s_or_b64 exec, exec, s[24:25]
	s_lshl_b64 s[20:21], s[22:23], 12
	v_mov_b32_e32 v7, s21
	v_add_co_u32_e32 v2, vcc, s20, v2
	v_addc_co_u32_e32 v3, vcc, v3, v7, vcc
	s_movk_i32 s15, 0xff1f
	v_and_or_b32 v4, v4, s15, 32
	v_add_co_u32_e32 v10, vcc, v2, v31
	s_mov_b32 s20, 0
	v_mov_b32_e32 v7, v6
	v_readfirstlane_b32 s24, v2
	v_readfirstlane_b32 s25, v3
	v_addc_co_u32_e32 v11, vcc, 0, v3, vcc
	s_mov_b32 s21, s20
	s_mov_b32 s22, s20
	;; [unrolled: 1-line block ×3, first 2 shown]
	s_nop 0
	global_store_dwordx4 v31, v[4:7], s[24:25]
	v_mov_b32_e32 v2, s20
	v_mov_b32_e32 v3, s21
	;; [unrolled: 1-line block ×4, first 2 shown]
	global_store_dwordx4 v31, v[2:5], s[24:25] offset:16
	global_store_dwordx4 v31, v[2:5], s[24:25] offset:32
	;; [unrolled: 1-line block ×3, first 2 shown]
	s_and_saveexec_b64 s[20:21], s[4:5]
	s_cbranch_execz .LBB5_553
; %bb.546:
	v_mov_b32_e32 v6, 0
	global_load_dwordx2 v[14:15], v6, s[6:7] offset:32 glc
	global_load_dwordx2 v[2:3], v6, s[6:7] offset:40
	v_mov_b32_e32 v12, s18
	v_mov_b32_e32 v13, s19
	s_waitcnt vmcnt(0)
	v_readfirstlane_b32 s22, v2
	v_readfirstlane_b32 s23, v3
	s_and_b64 s[22:23], s[22:23], s[18:19]
	s_mul_i32 s15, s23, 24
	s_mul_hi_u32 s23, s22, 24
	s_mul_i32 s22, s22, 24
	s_add_i32 s15, s23, s15
	v_mov_b32_e32 v2, s15
	v_add_co_u32_e32 v4, vcc, s22, v0
	v_addc_co_u32_e32 v5, vcc, v1, v2, vcc
	global_store_dwordx2 v[4:5], v[14:15], off
	s_waitcnt vmcnt(0)
	global_atomic_cmpswap_x2 v[2:3], v6, v[12:15], s[6:7] offset:32 glc
	s_waitcnt vmcnt(0)
	v_cmp_ne_u64_e32 vcc, v[2:3], v[14:15]
	s_and_saveexec_b64 s[22:23], vcc
	s_cbranch_execz .LBB5_549
; %bb.547:
	s_mov_b64 s[24:25], 0
.LBB5_548:                              ; =>This Inner Loop Header: Depth=1
	s_sleep 1
	global_store_dwordx2 v[4:5], v[2:3], off
	v_mov_b32_e32 v0, s18
	v_mov_b32_e32 v1, s19
	s_waitcnt vmcnt(0)
	global_atomic_cmpswap_x2 v[0:1], v6, v[0:3], s[6:7] offset:32 glc
	s_waitcnt vmcnt(0)
	v_cmp_eq_u64_e32 vcc, v[0:1], v[2:3]
	v_mov_b32_e32 v3, v1
	s_or_b64 s[24:25], vcc, s[24:25]
	v_mov_b32_e32 v2, v0
	s_andn2_b64 exec, exec, s[24:25]
	s_cbranch_execnz .LBB5_548
.LBB5_549:
	s_or_b64 exec, exec, s[22:23]
	v_mov_b32_e32 v3, 0
	global_load_dwordx2 v[0:1], v3, s[6:7] offset:16
	s_mov_b64 s[22:23], exec
	v_mbcnt_lo_u32_b32 v2, s22, 0
	v_mbcnt_hi_u32_b32 v2, s23, v2
	v_cmp_eq_u32_e32 vcc, 0, v2
	s_and_saveexec_b64 s[24:25], vcc
	s_cbranch_execz .LBB5_551
; %bb.550:
	s_bcnt1_i32_b64 s15, s[22:23]
	v_mov_b32_e32 v2, s15
	s_waitcnt vmcnt(0)
	global_atomic_add_x2 v[0:1], v[2:3], off offset:8
.LBB5_551:
	s_or_b64 exec, exec, s[24:25]
	s_waitcnt vmcnt(0)
	global_load_dwordx2 v[2:3], v[0:1], off offset:16
	s_waitcnt vmcnt(0)
	v_cmp_eq_u64_e32 vcc, 0, v[2:3]
	s_cbranch_vccnz .LBB5_553
; %bb.552:
	global_load_dword v0, v[0:1], off offset:24
	v_mov_b32_e32 v1, 0
	s_waitcnt vmcnt(0)
	global_store_dwordx2 v[2:3], v[0:1], off
	v_and_b32_e32 v0, 0xffffff, v0
	v_readfirstlane_b32 m0, v0
	s_sendmsg sendmsg(MSG_INTERRUPT)
.LBB5_553:
	s_or_b64 exec, exec, s[20:21]
	s_branch .LBB5_557
.LBB5_554:                              ;   in Loop: Header=BB5_557 Depth=1
	s_or_b64 exec, exec, s[20:21]
	v_readfirstlane_b32 s15, v0
	s_cmp_eq_u32 s15, 0
	s_cbranch_scc1 .LBB5_556
; %bb.555:                              ;   in Loop: Header=BB5_557 Depth=1
	s_sleep 1
	s_cbranch_execnz .LBB5_557
	s_branch .LBB5_559
.LBB5_556:
	s_branch .LBB5_559
.LBB5_557:                              ; =>This Inner Loop Header: Depth=1
	v_mov_b32_e32 v0, 1
	s_and_saveexec_b64 s[20:21], s[4:5]
	s_cbranch_execz .LBB5_554
; %bb.558:                              ;   in Loop: Header=BB5_557 Depth=1
	global_load_dword v0, v[8:9], off offset:20 glc
	s_waitcnt vmcnt(0)
	buffer_wbinvl1_vol
	v_and_b32_e32 v0, 1, v0
	s_branch .LBB5_554
.LBB5_559:
	global_load_dwordx2 v[0:1], v[10:11], off
	s_and_saveexec_b64 s[20:21], s[4:5]
	s_cbranch_execz .LBB5_562
; %bb.560:
	v_mov_b32_e32 v8, 0
	global_load_dwordx2 v[4:5], v8, s[6:7] offset:40
	global_load_dwordx2 v[9:10], v8, s[6:7] offset:24 glc
	global_load_dwordx2 v[6:7], v8, s[6:7]
	v_mov_b32_e32 v3, s19
	s_mov_b64 s[4:5], 0
	s_waitcnt vmcnt(2)
	v_add_co_u32_e32 v11, vcc, 1, v4
	v_addc_co_u32_e32 v12, vcc, 0, v5, vcc
	v_add_co_u32_e32 v2, vcc, s18, v11
	v_addc_co_u32_e32 v3, vcc, v12, v3, vcc
	v_cmp_eq_u64_e32 vcc, 0, v[2:3]
	v_cndmask_b32_e32 v3, v3, v12, vcc
	v_cndmask_b32_e32 v2, v2, v11, vcc
	v_and_b32_e32 v5, v3, v5
	v_and_b32_e32 v4, v2, v4
	v_mul_lo_u32 v5, v5, 24
	v_mul_hi_u32 v11, v4, 24
	v_mul_lo_u32 v12, v4, 24
	s_waitcnt vmcnt(1)
	v_mov_b32_e32 v4, v9
	v_add_u32_e32 v5, v11, v5
	s_waitcnt vmcnt(0)
	v_add_co_u32_e32 v6, vcc, v6, v12
	v_addc_co_u32_e32 v7, vcc, v7, v5, vcc
	global_store_dwordx2 v[6:7], v[9:10], off
	v_mov_b32_e32 v5, v10
	s_waitcnt vmcnt(0)
	global_atomic_cmpswap_x2 v[4:5], v8, v[2:5], s[6:7] offset:24 glc
	s_waitcnt vmcnt(0)
	v_cmp_ne_u64_e32 vcc, v[4:5], v[9:10]
	s_and_b64 exec, exec, vcc
	s_cbranch_execz .LBB5_562
.LBB5_561:                              ; =>This Inner Loop Header: Depth=1
	s_sleep 1
	global_store_dwordx2 v[6:7], v[4:5], off
	s_waitcnt vmcnt(0)
	global_atomic_cmpswap_x2 v[9:10], v8, v[2:5], s[6:7] offset:24 glc
	s_waitcnt vmcnt(0)
	v_cmp_eq_u64_e32 vcc, v[9:10], v[4:5]
	v_mov_b32_e32 v4, v9
	s_or_b64 s[4:5], vcc, s[4:5]
	v_mov_b32_e32 v5, v10
	s_andn2_b64 exec, exec, s[4:5]
	s_cbranch_execnz .LBB5_561
.LBB5_562:
	s_or_b64 exec, exec, s[20:21]
.LBB5_563:
	s_getpc_b64 s[18:19]
	s_add_u32 s18, s18, .str.1@rel32@lo+4
	s_addc_u32 s19, s19, .str.1@rel32@hi+12
	s_cmp_lg_u64 s[18:19], 0
	s_cbranch_scc0 .LBB5_648
; %bb.564:
	s_waitcnt vmcnt(0)
	v_and_b32_e32 v6, -3, v0
	v_mov_b32_e32 v7, v1
	s_mov_b64 s[20:21], 0x53
	v_mov_b32_e32 v26, 0
	v_mov_b32_e32 v4, 2
	;; [unrolled: 1-line block ×3, first 2 shown]
	s_branch .LBB5_566
.LBB5_565:                              ;   in Loop: Header=BB5_566 Depth=1
	s_or_b64 exec, exec, s[26:27]
	s_sub_u32 s20, s20, s22
	s_subb_u32 s21, s21, s23
	s_add_u32 s18, s18, s22
	s_addc_u32 s19, s19, s23
	s_cmp_lg_u64 s[20:21], 0
	s_cbranch_scc0 .LBB5_647
.LBB5_566:                              ; =>This Loop Header: Depth=1
                                        ;     Child Loop BB5_569 Depth 2
                                        ;     Child Loop BB5_576 Depth 2
	;; [unrolled: 1-line block ×11, first 2 shown]
	v_cmp_lt_u64_e64 s[4:5], s[20:21], 56
	v_cmp_gt_u64_e64 s[24:25], s[20:21], 7
	s_and_b64 s[4:5], s[4:5], exec
	s_cselect_b32 s23, s21, 0
	s_cselect_b32 s22, s20, 56
	s_and_b64 vcc, exec, s[24:25]
	s_cbranch_vccnz .LBB5_571
; %bb.567:                              ;   in Loop: Header=BB5_566 Depth=1
	s_waitcnt vmcnt(0)
	v_mov_b32_e32 v8, 0
	s_cmp_eq_u64 s[20:21], 0
	v_mov_b32_e32 v9, 0
	s_mov_b64 s[4:5], 0
	s_cbranch_scc1 .LBB5_570
; %bb.568:                              ;   in Loop: Header=BB5_566 Depth=1
	v_mov_b32_e32 v8, 0
	s_lshl_b64 s[24:25], s[22:23], 3
	s_mov_b64 s[26:27], 0
	v_mov_b32_e32 v9, 0
	s_mov_b64 s[28:29], s[18:19]
.LBB5_569:                              ;   Parent Loop BB5_566 Depth=1
                                        ; =>  This Inner Loop Header: Depth=2
	global_load_ubyte v2, v26, s[28:29]
	s_waitcnt vmcnt(0)
	v_and_b32_e32 v25, 0xffff, v2
	v_lshlrev_b64 v[2:3], s26, v[25:26]
	s_add_u32 s26, s26, 8
	s_addc_u32 s27, s27, 0
	s_add_u32 s28, s28, 1
	s_addc_u32 s29, s29, 0
	v_or_b32_e32 v8, v2, v8
	s_cmp_lg_u32 s24, s26
	v_or_b32_e32 v9, v3, v9
	s_cbranch_scc1 .LBB5_569
.LBB5_570:                              ;   in Loop: Header=BB5_566 Depth=1
	s_mov_b32 s15, 0
	s_andn2_b64 vcc, exec, s[4:5]
	s_mov_b64 s[4:5], s[18:19]
	s_cbranch_vccz .LBB5_572
	s_branch .LBB5_573
.LBB5_571:                              ;   in Loop: Header=BB5_566 Depth=1
                                        ; implicit-def: $sgpr15
	s_mov_b64 s[4:5], s[18:19]
.LBB5_572:                              ;   in Loop: Header=BB5_566 Depth=1
	global_load_dwordx2 v[8:9], v26, s[18:19]
	s_add_i32 s15, s22, -8
	s_add_u32 s4, s18, 8
	s_addc_u32 s5, s19, 0
.LBB5_573:                              ;   in Loop: Header=BB5_566 Depth=1
	s_cmp_gt_u32 s15, 7
	s_cbranch_scc1 .LBB5_577
; %bb.574:                              ;   in Loop: Header=BB5_566 Depth=1
	s_cmp_eq_u32 s15, 0
	s_cbranch_scc1 .LBB5_578
; %bb.575:                              ;   in Loop: Header=BB5_566 Depth=1
	v_mov_b32_e32 v10, 0
	s_mov_b64 s[24:25], 0
	v_mov_b32_e32 v11, 0
	s_mov_b64 s[26:27], 0
.LBB5_576:                              ;   Parent Loop BB5_566 Depth=1
                                        ; =>  This Inner Loop Header: Depth=2
	s_add_u32 s28, s4, s26
	s_addc_u32 s29, s5, s27
	global_load_ubyte v2, v26, s[28:29]
	s_add_u32 s26, s26, 1
	s_addc_u32 s27, s27, 0
	s_waitcnt vmcnt(0)
	v_and_b32_e32 v25, 0xffff, v2
	v_lshlrev_b64 v[2:3], s24, v[25:26]
	s_add_u32 s24, s24, 8
	s_addc_u32 s25, s25, 0
	v_or_b32_e32 v10, v2, v10
	s_cmp_lg_u32 s15, s26
	v_or_b32_e32 v11, v3, v11
	s_cbranch_scc1 .LBB5_576
	s_branch .LBB5_579
.LBB5_577:                              ;   in Loop: Header=BB5_566 Depth=1
                                        ; implicit-def: $vgpr10_vgpr11
                                        ; implicit-def: $sgpr28
	s_branch .LBB5_580
.LBB5_578:                              ;   in Loop: Header=BB5_566 Depth=1
	v_mov_b32_e32 v10, 0
	v_mov_b32_e32 v11, 0
.LBB5_579:                              ;   in Loop: Header=BB5_566 Depth=1
	s_mov_b32 s28, 0
	s_cbranch_execnz .LBB5_581
.LBB5_580:                              ;   in Loop: Header=BB5_566 Depth=1
	global_load_dwordx2 v[10:11], v26, s[4:5]
	s_add_i32 s28, s15, -8
	s_add_u32 s4, s4, 8
	s_addc_u32 s5, s5, 0
.LBB5_581:                              ;   in Loop: Header=BB5_566 Depth=1
	s_cmp_gt_u32 s28, 7
	s_cbranch_scc1 .LBB5_585
; %bb.582:                              ;   in Loop: Header=BB5_566 Depth=1
	s_cmp_eq_u32 s28, 0
	s_cbranch_scc1 .LBB5_586
; %bb.583:                              ;   in Loop: Header=BB5_566 Depth=1
	v_mov_b32_e32 v12, 0
	s_mov_b64 s[24:25], 0
	v_mov_b32_e32 v13, 0
	s_mov_b64 s[26:27], 0
.LBB5_584:                              ;   Parent Loop BB5_566 Depth=1
                                        ; =>  This Inner Loop Header: Depth=2
	s_add_u32 vcc_lo, s4, s26
	s_addc_u32 vcc_hi, s5, s27
	global_load_ubyte v2, v26, vcc
	s_add_u32 s26, s26, 1
	s_addc_u32 s27, s27, 0
	s_waitcnt vmcnt(0)
	v_and_b32_e32 v25, 0xffff, v2
	v_lshlrev_b64 v[2:3], s24, v[25:26]
	s_add_u32 s24, s24, 8
	s_addc_u32 s25, s25, 0
	v_or_b32_e32 v12, v2, v12
	s_cmp_lg_u32 s28, s26
	v_or_b32_e32 v13, v3, v13
	s_cbranch_scc1 .LBB5_584
	s_branch .LBB5_587
.LBB5_585:                              ;   in Loop: Header=BB5_566 Depth=1
                                        ; implicit-def: $sgpr15
	s_branch .LBB5_588
.LBB5_586:                              ;   in Loop: Header=BB5_566 Depth=1
	v_mov_b32_e32 v12, 0
	v_mov_b32_e32 v13, 0
.LBB5_587:                              ;   in Loop: Header=BB5_566 Depth=1
	s_mov_b32 s15, 0
	s_cbranch_execnz .LBB5_589
.LBB5_588:                              ;   in Loop: Header=BB5_566 Depth=1
	global_load_dwordx2 v[12:13], v26, s[4:5]
	s_add_i32 s15, s28, -8
	s_add_u32 s4, s4, 8
	s_addc_u32 s5, s5, 0
.LBB5_589:                              ;   in Loop: Header=BB5_566 Depth=1
	s_cmp_gt_u32 s15, 7
	s_cbranch_scc1 .LBB5_593
; %bb.590:                              ;   in Loop: Header=BB5_566 Depth=1
	s_cmp_eq_u32 s15, 0
	s_cbranch_scc1 .LBB5_594
; %bb.591:                              ;   in Loop: Header=BB5_566 Depth=1
	v_mov_b32_e32 v14, 0
	s_mov_b64 s[24:25], 0
	v_mov_b32_e32 v15, 0
	s_mov_b64 s[26:27], 0
.LBB5_592:                              ;   Parent Loop BB5_566 Depth=1
                                        ; =>  This Inner Loop Header: Depth=2
	s_add_u32 s28, s4, s26
	s_addc_u32 s29, s5, s27
	global_load_ubyte v2, v26, s[28:29]
	s_add_u32 s26, s26, 1
	s_addc_u32 s27, s27, 0
	s_waitcnt vmcnt(0)
	v_and_b32_e32 v25, 0xffff, v2
	v_lshlrev_b64 v[2:3], s24, v[25:26]
	s_add_u32 s24, s24, 8
	s_addc_u32 s25, s25, 0
	v_or_b32_e32 v14, v2, v14
	s_cmp_lg_u32 s15, s26
	v_or_b32_e32 v15, v3, v15
	s_cbranch_scc1 .LBB5_592
	s_branch .LBB5_595
.LBB5_593:                              ;   in Loop: Header=BB5_566 Depth=1
                                        ; implicit-def: $vgpr14_vgpr15
                                        ; implicit-def: $sgpr28
	s_branch .LBB5_596
.LBB5_594:                              ;   in Loop: Header=BB5_566 Depth=1
	v_mov_b32_e32 v14, 0
	v_mov_b32_e32 v15, 0
.LBB5_595:                              ;   in Loop: Header=BB5_566 Depth=1
	s_mov_b32 s28, 0
	s_cbranch_execnz .LBB5_597
.LBB5_596:                              ;   in Loop: Header=BB5_566 Depth=1
	global_load_dwordx2 v[14:15], v26, s[4:5]
	s_add_i32 s28, s15, -8
	s_add_u32 s4, s4, 8
	s_addc_u32 s5, s5, 0
.LBB5_597:                              ;   in Loop: Header=BB5_566 Depth=1
	s_cmp_gt_u32 s28, 7
	s_cbranch_scc1 .LBB5_601
; %bb.598:                              ;   in Loop: Header=BB5_566 Depth=1
	s_cmp_eq_u32 s28, 0
	s_cbranch_scc1 .LBB5_602
; %bb.599:                              ;   in Loop: Header=BB5_566 Depth=1
	v_mov_b32_e32 v16, 0
	s_mov_b64 s[24:25], 0
	v_mov_b32_e32 v17, 0
	s_mov_b64 s[26:27], 0
.LBB5_600:                              ;   Parent Loop BB5_566 Depth=1
                                        ; =>  This Inner Loop Header: Depth=2
	s_add_u32 vcc_lo, s4, s26
	s_addc_u32 vcc_hi, s5, s27
	global_load_ubyte v2, v26, vcc
	s_add_u32 s26, s26, 1
	s_addc_u32 s27, s27, 0
	s_waitcnt vmcnt(0)
	v_and_b32_e32 v25, 0xffff, v2
	v_lshlrev_b64 v[2:3], s24, v[25:26]
	s_add_u32 s24, s24, 8
	s_addc_u32 s25, s25, 0
	v_or_b32_e32 v16, v2, v16
	s_cmp_lg_u32 s28, s26
	v_or_b32_e32 v17, v3, v17
	s_cbranch_scc1 .LBB5_600
	s_branch .LBB5_603
.LBB5_601:                              ;   in Loop: Header=BB5_566 Depth=1
                                        ; implicit-def: $sgpr15
	s_branch .LBB5_604
.LBB5_602:                              ;   in Loop: Header=BB5_566 Depth=1
	v_mov_b32_e32 v16, 0
	v_mov_b32_e32 v17, 0
.LBB5_603:                              ;   in Loop: Header=BB5_566 Depth=1
	s_mov_b32 s15, 0
	s_cbranch_execnz .LBB5_605
.LBB5_604:                              ;   in Loop: Header=BB5_566 Depth=1
	global_load_dwordx2 v[16:17], v26, s[4:5]
	s_add_i32 s15, s28, -8
	s_add_u32 s4, s4, 8
	s_addc_u32 s5, s5, 0
.LBB5_605:                              ;   in Loop: Header=BB5_566 Depth=1
	s_cmp_gt_u32 s15, 7
	s_cbranch_scc1 .LBB5_609
; %bb.606:                              ;   in Loop: Header=BB5_566 Depth=1
	s_cmp_eq_u32 s15, 0
	s_cbranch_scc1 .LBB5_610
; %bb.607:                              ;   in Loop: Header=BB5_566 Depth=1
	v_mov_b32_e32 v18, 0
	s_mov_b64 s[24:25], 0
	v_mov_b32_e32 v19, 0
	s_mov_b64 s[26:27], 0
.LBB5_608:                              ;   Parent Loop BB5_566 Depth=1
                                        ; =>  This Inner Loop Header: Depth=2
	s_add_u32 s28, s4, s26
	s_addc_u32 s29, s5, s27
	global_load_ubyte v2, v26, s[28:29]
	s_add_u32 s26, s26, 1
	s_addc_u32 s27, s27, 0
	s_waitcnt vmcnt(0)
	v_and_b32_e32 v25, 0xffff, v2
	v_lshlrev_b64 v[2:3], s24, v[25:26]
	s_add_u32 s24, s24, 8
	s_addc_u32 s25, s25, 0
	v_or_b32_e32 v18, v2, v18
	s_cmp_lg_u32 s15, s26
	v_or_b32_e32 v19, v3, v19
	s_cbranch_scc1 .LBB5_608
	s_branch .LBB5_611
.LBB5_609:                              ;   in Loop: Header=BB5_566 Depth=1
                                        ; implicit-def: $vgpr18_vgpr19
                                        ; implicit-def: $sgpr28
	s_branch .LBB5_612
.LBB5_610:                              ;   in Loop: Header=BB5_566 Depth=1
	v_mov_b32_e32 v18, 0
	v_mov_b32_e32 v19, 0
.LBB5_611:                              ;   in Loop: Header=BB5_566 Depth=1
	s_mov_b32 s28, 0
	s_cbranch_execnz .LBB5_613
.LBB5_612:                              ;   in Loop: Header=BB5_566 Depth=1
	global_load_dwordx2 v[18:19], v26, s[4:5]
	s_add_i32 s28, s15, -8
	s_add_u32 s4, s4, 8
	s_addc_u32 s5, s5, 0
.LBB5_613:                              ;   in Loop: Header=BB5_566 Depth=1
	s_cmp_gt_u32 s28, 7
	s_cbranch_scc1 .LBB5_617
; %bb.614:                              ;   in Loop: Header=BB5_566 Depth=1
	s_cmp_eq_u32 s28, 0
	s_cbranch_scc1 .LBB5_618
; %bb.615:                              ;   in Loop: Header=BB5_566 Depth=1
	v_mov_b32_e32 v20, 0
	s_mov_b64 s[24:25], 0
	v_mov_b32_e32 v21, 0
	s_mov_b64 s[26:27], s[4:5]
.LBB5_616:                              ;   Parent Loop BB5_566 Depth=1
                                        ; =>  This Inner Loop Header: Depth=2
	global_load_ubyte v2, v26, s[26:27]
	s_add_i32 s28, s28, -1
	s_waitcnt vmcnt(0)
	v_and_b32_e32 v25, 0xffff, v2
	v_lshlrev_b64 v[2:3], s24, v[25:26]
	s_add_u32 s24, s24, 8
	s_addc_u32 s25, s25, 0
	s_add_u32 s26, s26, 1
	s_addc_u32 s27, s27, 0
	v_or_b32_e32 v20, v2, v20
	s_cmp_lg_u32 s28, 0
	v_or_b32_e32 v21, v3, v21
	s_cbranch_scc1 .LBB5_616
	s_branch .LBB5_619
.LBB5_617:                              ;   in Loop: Header=BB5_566 Depth=1
	s_branch .LBB5_620
.LBB5_618:                              ;   in Loop: Header=BB5_566 Depth=1
	v_mov_b32_e32 v20, 0
	v_mov_b32_e32 v21, 0
.LBB5_619:                              ;   in Loop: Header=BB5_566 Depth=1
	s_cbranch_execnz .LBB5_621
.LBB5_620:                              ;   in Loop: Header=BB5_566 Depth=1
	global_load_dwordx2 v[20:21], v26, s[4:5]
.LBB5_621:                              ;   in Loop: Header=BB5_566 Depth=1
	v_readfirstlane_b32 s4, v32
	v_mov_b32_e32 v2, 0
	v_mov_b32_e32 v3, 0
	v_cmp_eq_u32_e64 s[4:5], s4, v32
	s_and_saveexec_b64 s[24:25], s[4:5]
	s_cbranch_execz .LBB5_627
; %bb.622:                              ;   in Loop: Header=BB5_566 Depth=1
	global_load_dwordx2 v[24:25], v26, s[6:7] offset:24 glc
	s_waitcnt vmcnt(0)
	buffer_wbinvl1_vol
	global_load_dwordx2 v[2:3], v26, s[6:7] offset:40
	global_load_dwordx2 v[22:23], v26, s[6:7]
	s_waitcnt vmcnt(1)
	v_and_b32_e32 v2, v2, v24
	v_and_b32_e32 v3, v3, v25
	v_mul_lo_u32 v3, v3, 24
	v_mul_hi_u32 v27, v2, 24
	v_mul_lo_u32 v2, v2, 24
	v_add_u32_e32 v3, v27, v3
	s_waitcnt vmcnt(0)
	v_add_co_u32_e32 v2, vcc, v22, v2
	v_addc_co_u32_e32 v3, vcc, v23, v3, vcc
	global_load_dwordx2 v[22:23], v[2:3], off glc
	s_waitcnt vmcnt(0)
	global_atomic_cmpswap_x2 v[2:3], v26, v[22:25], s[6:7] offset:24 glc
	s_waitcnt vmcnt(0)
	buffer_wbinvl1_vol
	v_cmp_ne_u64_e32 vcc, v[2:3], v[24:25]
	s_and_saveexec_b64 s[26:27], vcc
	s_cbranch_execz .LBB5_626
; %bb.623:                              ;   in Loop: Header=BB5_566 Depth=1
	s_mov_b64 s[28:29], 0
.LBB5_624:                              ;   Parent Loop BB5_566 Depth=1
                                        ; =>  This Inner Loop Header: Depth=2
	s_sleep 1
	global_load_dwordx2 v[22:23], v26, s[6:7] offset:40
	global_load_dwordx2 v[27:28], v26, s[6:7]
	v_mov_b32_e32 v25, v3
	v_mov_b32_e32 v24, v2
	s_waitcnt vmcnt(1)
	v_and_b32_e32 v2, v22, v24
	s_waitcnt vmcnt(0)
	v_mad_u64_u32 v[2:3], vcc, v2, 24, v[27:28]
	v_and_b32_e32 v22, v23, v25
	v_mad_u64_u32 v[22:23], vcc, v22, 24, v[3:4]
	v_mov_b32_e32 v3, v22
	global_load_dwordx2 v[22:23], v[2:3], off glc
	s_waitcnt vmcnt(0)
	global_atomic_cmpswap_x2 v[2:3], v26, v[22:25], s[6:7] offset:24 glc
	s_waitcnt vmcnt(0)
	buffer_wbinvl1_vol
	v_cmp_eq_u64_e32 vcc, v[2:3], v[24:25]
	s_or_b64 s[28:29], vcc, s[28:29]
	s_andn2_b64 exec, exec, s[28:29]
	s_cbranch_execnz .LBB5_624
; %bb.625:                              ;   in Loop: Header=BB5_566 Depth=1
	s_or_b64 exec, exec, s[28:29]
.LBB5_626:                              ;   in Loop: Header=BB5_566 Depth=1
	s_or_b64 exec, exec, s[26:27]
.LBB5_627:                              ;   in Loop: Header=BB5_566 Depth=1
	s_or_b64 exec, exec, s[24:25]
	global_load_dwordx2 v[27:28], v26, s[6:7] offset:40
	global_load_dwordx4 v[22:25], v26, s[6:7]
	v_readfirstlane_b32 s24, v2
	v_readfirstlane_b32 s25, v3
	s_mov_b64 s[26:27], exec
	s_waitcnt vmcnt(1)
	v_readfirstlane_b32 s28, v27
	v_readfirstlane_b32 s29, v28
	s_and_b64 s[28:29], s[24:25], s[28:29]
	s_mul_i32 s15, s29, 24
	s_mul_hi_u32 vcc_lo, s28, 24
	s_mul_i32 vcc_hi, s28, 24
	s_add_i32 s15, vcc_lo, s15
	v_mov_b32_e32 v2, s15
	s_waitcnt vmcnt(0)
	v_add_co_u32_e32 v27, vcc, vcc_hi, v22
	v_addc_co_u32_e32 v28, vcc, v23, v2, vcc
	s_and_saveexec_b64 vcc, s[4:5]
	s_cbranch_execz .LBB5_629
; %bb.628:                              ;   in Loop: Header=BB5_566 Depth=1
	v_mov_b32_e32 v2, s26
	v_mov_b32_e32 v3, s27
	global_store_dwordx4 v[27:28], v[2:5], off offset:8
.LBB5_629:                              ;   in Loop: Header=BB5_566 Depth=1
	s_or_b64 exec, exec, vcc
	s_lshl_b64 s[26:27], s[28:29], 12
	v_mov_b32_e32 v2, s27
	v_add_co_u32_e32 v24, vcc, s26, v24
	v_addc_co_u32_e32 v29, vcc, v25, v2, vcc
	v_cmp_gt_u64_e64 vcc, s[20:21], 56
	v_or_b32_e32 v2, 2, v6
	s_lshl_b32 s15, s22, 2
	v_cndmask_b32_e32 v2, v2, v6, vcc
	s_add_i32 s15, s15, 28
	s_and_b32 s15, s15, 0x1e0
	v_and_b32_e32 v2, 0xffffff1f, v2
	v_or_b32_e32 v6, s15, v2
	v_readfirstlane_b32 s26, v24
	v_readfirstlane_b32 s27, v29
	s_nop 4
	global_store_dwordx4 v31, v[6:9], s[26:27]
	global_store_dwordx4 v31, v[10:13], s[26:27] offset:16
	global_store_dwordx4 v31, v[14:17], s[26:27] offset:32
	;; [unrolled: 1-line block ×3, first 2 shown]
	s_and_saveexec_b64 s[26:27], s[4:5]
	s_cbranch_execz .LBB5_637
; %bb.630:                              ;   in Loop: Header=BB5_566 Depth=1
	global_load_dwordx2 v[10:11], v26, s[6:7] offset:32 glc
	global_load_dwordx2 v[2:3], v26, s[6:7] offset:40
	v_mov_b32_e32 v8, s24
	v_mov_b32_e32 v9, s25
	s_waitcnt vmcnt(0)
	v_readfirstlane_b32 s28, v2
	v_readfirstlane_b32 s29, v3
	s_and_b64 s[28:29], s[28:29], s[24:25]
	s_mul_i32 s15, s29, 24
	s_mul_hi_u32 s29, s28, 24
	s_mul_i32 s28, s28, 24
	s_add_i32 s15, s29, s15
	v_mov_b32_e32 v3, s15
	v_add_co_u32_e32 v2, vcc, s28, v22
	v_addc_co_u32_e32 v3, vcc, v23, v3, vcc
	global_store_dwordx2 v[2:3], v[10:11], off
	s_waitcnt vmcnt(0)
	global_atomic_cmpswap_x2 v[8:9], v26, v[8:11], s[6:7] offset:32 glc
	s_waitcnt vmcnt(0)
	v_cmp_ne_u64_e32 vcc, v[8:9], v[10:11]
	s_and_saveexec_b64 s[28:29], vcc
	s_cbranch_execz .LBB5_633
; %bb.631:                              ;   in Loop: Header=BB5_566 Depth=1
	s_mov_b64 s[30:31], 0
.LBB5_632:                              ;   Parent Loop BB5_566 Depth=1
                                        ; =>  This Inner Loop Header: Depth=2
	s_sleep 1
	global_store_dwordx2 v[2:3], v[8:9], off
	v_mov_b32_e32 v6, s24
	v_mov_b32_e32 v7, s25
	s_waitcnt vmcnt(0)
	global_atomic_cmpswap_x2 v[6:7], v26, v[6:9], s[6:7] offset:32 glc
	s_waitcnt vmcnt(0)
	v_cmp_eq_u64_e32 vcc, v[6:7], v[8:9]
	v_mov_b32_e32 v9, v7
	s_or_b64 s[30:31], vcc, s[30:31]
	v_mov_b32_e32 v8, v6
	s_andn2_b64 exec, exec, s[30:31]
	s_cbranch_execnz .LBB5_632
.LBB5_633:                              ;   in Loop: Header=BB5_566 Depth=1
	s_or_b64 exec, exec, s[28:29]
	global_load_dwordx2 v[2:3], v26, s[6:7] offset:16
	s_mov_b64 s[30:31], exec
	v_mbcnt_lo_u32_b32 v6, s30, 0
	v_mbcnt_hi_u32_b32 v6, s31, v6
	v_cmp_eq_u32_e32 vcc, 0, v6
	s_and_saveexec_b64 s[28:29], vcc
	s_cbranch_execz .LBB5_635
; %bb.634:                              ;   in Loop: Header=BB5_566 Depth=1
	s_bcnt1_i32_b64 s15, s[30:31]
	v_mov_b32_e32 v25, s15
	s_waitcnt vmcnt(0)
	global_atomic_add_x2 v[2:3], v[25:26], off offset:8
.LBB5_635:                              ;   in Loop: Header=BB5_566 Depth=1
	s_or_b64 exec, exec, s[28:29]
	s_waitcnt vmcnt(0)
	global_load_dwordx2 v[6:7], v[2:3], off offset:16
	s_waitcnt vmcnt(0)
	v_cmp_eq_u64_e32 vcc, 0, v[6:7]
	s_cbranch_vccnz .LBB5_637
; %bb.636:                              ;   in Loop: Header=BB5_566 Depth=1
	global_load_dword v25, v[2:3], off offset:24
	s_waitcnt vmcnt(0)
	v_and_b32_e32 v2, 0xffffff, v25
	v_readfirstlane_b32 m0, v2
	global_store_dwordx2 v[6:7], v[25:26], off
	s_sendmsg sendmsg(MSG_INTERRUPT)
.LBB5_637:                              ;   in Loop: Header=BB5_566 Depth=1
	s_or_b64 exec, exec, s[26:27]
	v_add_co_u32_e32 v2, vcc, v24, v31
	v_addc_co_u32_e32 v3, vcc, 0, v29, vcc
	s_branch .LBB5_641
.LBB5_638:                              ;   in Loop: Header=BB5_641 Depth=2
	s_or_b64 exec, exec, s[26:27]
	v_readfirstlane_b32 s15, v6
	s_cmp_eq_u32 s15, 0
	s_cbranch_scc1 .LBB5_640
; %bb.639:                              ;   in Loop: Header=BB5_641 Depth=2
	s_sleep 1
	s_cbranch_execnz .LBB5_641
	s_branch .LBB5_643
.LBB5_640:                              ;   in Loop: Header=BB5_566 Depth=1
	s_branch .LBB5_643
.LBB5_641:                              ;   Parent Loop BB5_566 Depth=1
                                        ; =>  This Inner Loop Header: Depth=2
	v_mov_b32_e32 v6, 1
	s_and_saveexec_b64 s[26:27], s[4:5]
	s_cbranch_execz .LBB5_638
; %bb.642:                              ;   in Loop: Header=BB5_641 Depth=2
	global_load_dword v6, v[27:28], off offset:20 glc
	s_waitcnt vmcnt(0)
	buffer_wbinvl1_vol
	v_and_b32_e32 v6, 1, v6
	s_branch .LBB5_638
.LBB5_643:                              ;   in Loop: Header=BB5_566 Depth=1
	global_load_dwordx4 v[6:9], v[2:3], off
	s_and_saveexec_b64 s[26:27], s[4:5]
	s_cbranch_execz .LBB5_565
; %bb.644:                              ;   in Loop: Header=BB5_566 Depth=1
	global_load_dwordx2 v[2:3], v26, s[6:7] offset:40
	global_load_dwordx2 v[12:13], v26, s[6:7] offset:24 glc
	global_load_dwordx2 v[14:15], v26, s[6:7]
	s_waitcnt vmcnt(3)
	v_mov_b32_e32 v9, s25
	s_waitcnt vmcnt(2)
	v_add_co_u32_e32 v10, vcc, 1, v2
	v_addc_co_u32_e32 v11, vcc, 0, v3, vcc
	v_add_co_u32_e32 v8, vcc, s24, v10
	v_addc_co_u32_e32 v9, vcc, v11, v9, vcc
	v_cmp_eq_u64_e32 vcc, 0, v[8:9]
	v_cndmask_b32_e32 v9, v9, v11, vcc
	v_cndmask_b32_e32 v8, v8, v10, vcc
	v_and_b32_e32 v3, v9, v3
	v_and_b32_e32 v2, v8, v2
	v_mul_lo_u32 v3, v3, 24
	v_mul_hi_u32 v11, v2, 24
	v_mul_lo_u32 v2, v2, 24
	s_waitcnt vmcnt(1)
	v_mov_b32_e32 v10, v12
	v_add_u32_e32 v3, v11, v3
	s_waitcnt vmcnt(0)
	v_add_co_u32_e32 v2, vcc, v14, v2
	v_addc_co_u32_e32 v3, vcc, v15, v3, vcc
	global_store_dwordx2 v[2:3], v[12:13], off
	v_mov_b32_e32 v11, v13
	s_waitcnt vmcnt(0)
	global_atomic_cmpswap_x2 v[10:11], v26, v[8:11], s[6:7] offset:24 glc
	s_waitcnt vmcnt(0)
	v_cmp_ne_u64_e32 vcc, v[10:11], v[12:13]
	s_and_b64 exec, exec, vcc
	s_cbranch_execz .LBB5_565
; %bb.645:                              ;   in Loop: Header=BB5_566 Depth=1
	s_mov_b64 s[4:5], 0
.LBB5_646:                              ;   Parent Loop BB5_566 Depth=1
                                        ; =>  This Inner Loop Header: Depth=2
	s_sleep 1
	global_store_dwordx2 v[2:3], v[10:11], off
	s_waitcnt vmcnt(0)
	global_atomic_cmpswap_x2 v[12:13], v26, v[8:11], s[6:7] offset:24 glc
	s_waitcnt vmcnt(0)
	v_cmp_eq_u64_e32 vcc, v[12:13], v[10:11]
	v_mov_b32_e32 v10, v12
	s_or_b64 s[4:5], vcc, s[4:5]
	v_mov_b32_e32 v11, v13
	s_andn2_b64 exec, exec, s[4:5]
	s_cbranch_execnz .LBB5_646
	s_branch .LBB5_565
.LBB5_647:
	s_branch .LBB5_675
.LBB5_648:
	s_cbranch_execz .LBB5_675
; %bb.649:
	v_readfirstlane_b32 s4, v32
	s_waitcnt vmcnt(0)
	v_mov_b32_e32 v8, 0
	v_mov_b32_e32 v9, 0
	v_cmp_eq_u32_e64 s[4:5], s4, v32
	s_and_saveexec_b64 s[18:19], s[4:5]
	s_cbranch_execz .LBB5_655
; %bb.650:
	v_mov_b32_e32 v2, 0
	global_load_dwordx2 v[5:6], v2, s[6:7] offset:24 glc
	s_waitcnt vmcnt(0)
	buffer_wbinvl1_vol
	global_load_dwordx2 v[3:4], v2, s[6:7] offset:40
	global_load_dwordx2 v[7:8], v2, s[6:7]
	s_waitcnt vmcnt(1)
	v_and_b32_e32 v3, v3, v5
	v_and_b32_e32 v4, v4, v6
	v_mul_lo_u32 v4, v4, 24
	v_mul_hi_u32 v9, v3, 24
	v_mul_lo_u32 v3, v3, 24
	v_add_u32_e32 v4, v9, v4
	s_waitcnt vmcnt(0)
	v_add_co_u32_e32 v3, vcc, v7, v3
	v_addc_co_u32_e32 v4, vcc, v8, v4, vcc
	global_load_dwordx2 v[3:4], v[3:4], off glc
	s_waitcnt vmcnt(0)
	global_atomic_cmpswap_x2 v[8:9], v2, v[3:6], s[6:7] offset:24 glc
	s_waitcnt vmcnt(0)
	buffer_wbinvl1_vol
	v_cmp_ne_u64_e32 vcc, v[8:9], v[5:6]
	s_and_saveexec_b64 s[20:21], vcc
	s_cbranch_execz .LBB5_654
; %bb.651:
	s_mov_b64 s[22:23], 0
.LBB5_652:                              ; =>This Inner Loop Header: Depth=1
	s_sleep 1
	global_load_dwordx2 v[3:4], v2, s[6:7] offset:40
	global_load_dwordx2 v[10:11], v2, s[6:7]
	v_mov_b32_e32 v5, v8
	v_mov_b32_e32 v6, v9
	s_waitcnt vmcnt(1)
	v_and_b32_e32 v3, v3, v5
	s_waitcnt vmcnt(0)
	v_mad_u64_u32 v[7:8], s[24:25], v3, 24, v[10:11]
	v_and_b32_e32 v4, v4, v6
	v_mov_b32_e32 v3, v8
	v_mad_u64_u32 v[3:4], s[24:25], v4, 24, v[3:4]
	v_mov_b32_e32 v8, v3
	global_load_dwordx2 v[3:4], v[7:8], off glc
	s_waitcnt vmcnt(0)
	global_atomic_cmpswap_x2 v[8:9], v2, v[3:6], s[6:7] offset:24 glc
	s_waitcnt vmcnt(0)
	buffer_wbinvl1_vol
	v_cmp_eq_u64_e32 vcc, v[8:9], v[5:6]
	s_or_b64 s[22:23], vcc, s[22:23]
	s_andn2_b64 exec, exec, s[22:23]
	s_cbranch_execnz .LBB5_652
; %bb.653:
	s_or_b64 exec, exec, s[22:23]
.LBB5_654:
	s_or_b64 exec, exec, s[20:21]
.LBB5_655:
	s_or_b64 exec, exec, s[18:19]
	v_mov_b32_e32 v2, 0
	global_load_dwordx2 v[10:11], v2, s[6:7] offset:40
	global_load_dwordx4 v[4:7], v2, s[6:7]
	v_readfirstlane_b32 s18, v8
	v_readfirstlane_b32 s19, v9
	s_mov_b64 s[20:21], exec
	s_waitcnt vmcnt(1)
	v_readfirstlane_b32 s22, v10
	v_readfirstlane_b32 s23, v11
	s_and_b64 s[22:23], s[18:19], s[22:23]
	s_mul_i32 s15, s23, 24
	s_mul_hi_u32 s24, s22, 24
	s_mul_i32 s25, s22, 24
	s_add_i32 s15, s24, s15
	v_mov_b32_e32 v3, s15
	s_waitcnt vmcnt(0)
	v_add_co_u32_e32 v8, vcc, s25, v4
	v_addc_co_u32_e32 v9, vcc, v5, v3, vcc
	s_and_saveexec_b64 s[24:25], s[4:5]
	s_cbranch_execz .LBB5_657
; %bb.656:
	v_mov_b32_e32 v10, s20
	v_mov_b32_e32 v11, s21
	;; [unrolled: 1-line block ×4, first 2 shown]
	global_store_dwordx4 v[8:9], v[10:13], off offset:8
.LBB5_657:
	s_or_b64 exec, exec, s[24:25]
	s_lshl_b64 s[20:21], s[22:23], 12
	v_mov_b32_e32 v3, s21
	v_add_co_u32_e32 v6, vcc, s20, v6
	v_addc_co_u32_e32 v7, vcc, v7, v3, vcc
	s_movk_i32 s15, 0xff1d
	v_and_or_b32 v0, v0, s15, 34
	s_mov_b32 s20, 0
	v_mov_b32_e32 v3, v2
	v_readfirstlane_b32 s24, v6
	v_readfirstlane_b32 s25, v7
	s_mov_b32 s21, s20
	s_mov_b32 s22, s20
	;; [unrolled: 1-line block ×3, first 2 shown]
	s_nop 1
	global_store_dwordx4 v31, v[0:3], s[24:25]
	s_nop 0
	v_mov_b32_e32 v0, s20
	v_mov_b32_e32 v1, s21
	;; [unrolled: 1-line block ×4, first 2 shown]
	global_store_dwordx4 v31, v[0:3], s[24:25] offset:16
	global_store_dwordx4 v31, v[0:3], s[24:25] offset:32
	;; [unrolled: 1-line block ×3, first 2 shown]
	s_and_saveexec_b64 s[20:21], s[4:5]
	s_cbranch_execz .LBB5_665
; %bb.658:
	v_mov_b32_e32 v6, 0
	global_load_dwordx2 v[12:13], v6, s[6:7] offset:32 glc
	global_load_dwordx2 v[0:1], v6, s[6:7] offset:40
	v_mov_b32_e32 v10, s18
	v_mov_b32_e32 v11, s19
	s_waitcnt vmcnt(0)
	v_readfirstlane_b32 s22, v0
	v_readfirstlane_b32 s23, v1
	s_and_b64 s[22:23], s[22:23], s[18:19]
	s_mul_i32 s15, s23, 24
	s_mul_hi_u32 s23, s22, 24
	s_mul_i32 s22, s22, 24
	s_add_i32 s15, s23, s15
	v_mov_b32_e32 v0, s15
	v_add_co_u32_e32 v4, vcc, s22, v4
	v_addc_co_u32_e32 v5, vcc, v5, v0, vcc
	global_store_dwordx2 v[4:5], v[12:13], off
	s_waitcnt vmcnt(0)
	global_atomic_cmpswap_x2 v[2:3], v6, v[10:13], s[6:7] offset:32 glc
	s_waitcnt vmcnt(0)
	v_cmp_ne_u64_e32 vcc, v[2:3], v[12:13]
	s_and_saveexec_b64 s[22:23], vcc
	s_cbranch_execz .LBB5_661
; %bb.659:
	s_mov_b64 s[24:25], 0
.LBB5_660:                              ; =>This Inner Loop Header: Depth=1
	s_sleep 1
	global_store_dwordx2 v[4:5], v[2:3], off
	v_mov_b32_e32 v0, s18
	v_mov_b32_e32 v1, s19
	s_waitcnt vmcnt(0)
	global_atomic_cmpswap_x2 v[0:1], v6, v[0:3], s[6:7] offset:32 glc
	s_waitcnt vmcnt(0)
	v_cmp_eq_u64_e32 vcc, v[0:1], v[2:3]
	v_mov_b32_e32 v3, v1
	s_or_b64 s[24:25], vcc, s[24:25]
	v_mov_b32_e32 v2, v0
	s_andn2_b64 exec, exec, s[24:25]
	s_cbranch_execnz .LBB5_660
.LBB5_661:
	s_or_b64 exec, exec, s[22:23]
	v_mov_b32_e32 v3, 0
	global_load_dwordx2 v[0:1], v3, s[6:7] offset:16
	s_mov_b64 s[22:23], exec
	v_mbcnt_lo_u32_b32 v2, s22, 0
	v_mbcnt_hi_u32_b32 v2, s23, v2
	v_cmp_eq_u32_e32 vcc, 0, v2
	s_and_saveexec_b64 s[24:25], vcc
	s_cbranch_execz .LBB5_663
; %bb.662:
	s_bcnt1_i32_b64 s15, s[22:23]
	v_mov_b32_e32 v2, s15
	s_waitcnt vmcnt(0)
	global_atomic_add_x2 v[0:1], v[2:3], off offset:8
.LBB5_663:
	s_or_b64 exec, exec, s[24:25]
	s_waitcnt vmcnt(0)
	global_load_dwordx2 v[2:3], v[0:1], off offset:16
	s_waitcnt vmcnt(0)
	v_cmp_eq_u64_e32 vcc, 0, v[2:3]
	s_cbranch_vccnz .LBB5_665
; %bb.664:
	global_load_dword v0, v[0:1], off offset:24
	v_mov_b32_e32 v1, 0
	s_waitcnt vmcnt(0)
	global_store_dwordx2 v[2:3], v[0:1], off
	v_and_b32_e32 v0, 0xffffff, v0
	v_readfirstlane_b32 m0, v0
	s_sendmsg sendmsg(MSG_INTERRUPT)
.LBB5_665:
	s_or_b64 exec, exec, s[20:21]
	s_branch .LBB5_669
.LBB5_666:                              ;   in Loop: Header=BB5_669 Depth=1
	s_or_b64 exec, exec, s[20:21]
	v_readfirstlane_b32 s15, v0
	s_cmp_eq_u32 s15, 0
	s_cbranch_scc1 .LBB5_668
; %bb.667:                              ;   in Loop: Header=BB5_669 Depth=1
	s_sleep 1
	s_cbranch_execnz .LBB5_669
	s_branch .LBB5_671
.LBB5_668:
	s_branch .LBB5_671
.LBB5_669:                              ; =>This Inner Loop Header: Depth=1
	v_mov_b32_e32 v0, 1
	s_and_saveexec_b64 s[20:21], s[4:5]
	s_cbranch_execz .LBB5_666
; %bb.670:                              ;   in Loop: Header=BB5_669 Depth=1
	global_load_dword v0, v[8:9], off offset:20 glc
	s_waitcnt vmcnt(0)
	buffer_wbinvl1_vol
	v_and_b32_e32 v0, 1, v0
	s_branch .LBB5_666
.LBB5_671:
	s_and_saveexec_b64 s[20:21], s[4:5]
	s_cbranch_execz .LBB5_674
; %bb.672:
	v_mov_b32_e32 v6, 0
	global_load_dwordx2 v[2:3], v6, s[6:7] offset:40
	global_load_dwordx2 v[7:8], v6, s[6:7] offset:24 glc
	global_load_dwordx2 v[4:5], v6, s[6:7]
	v_mov_b32_e32 v1, s19
	s_mov_b64 s[4:5], 0
	s_waitcnt vmcnt(2)
	v_add_co_u32_e32 v9, vcc, 1, v2
	v_addc_co_u32_e32 v10, vcc, 0, v3, vcc
	v_add_co_u32_e32 v0, vcc, s18, v9
	v_addc_co_u32_e32 v1, vcc, v10, v1, vcc
	v_cmp_eq_u64_e32 vcc, 0, v[0:1]
	v_cndmask_b32_e32 v1, v1, v10, vcc
	v_cndmask_b32_e32 v0, v0, v9, vcc
	v_and_b32_e32 v3, v1, v3
	v_and_b32_e32 v2, v0, v2
	v_mul_lo_u32 v3, v3, 24
	v_mul_hi_u32 v9, v2, 24
	v_mul_lo_u32 v10, v2, 24
	s_waitcnt vmcnt(1)
	v_mov_b32_e32 v2, v7
	v_add_u32_e32 v3, v9, v3
	s_waitcnt vmcnt(0)
	v_add_co_u32_e32 v4, vcc, v4, v10
	v_addc_co_u32_e32 v5, vcc, v5, v3, vcc
	global_store_dwordx2 v[4:5], v[7:8], off
	v_mov_b32_e32 v3, v8
	s_waitcnt vmcnt(0)
	global_atomic_cmpswap_x2 v[2:3], v6, v[0:3], s[6:7] offset:24 glc
	s_waitcnt vmcnt(0)
	v_cmp_ne_u64_e32 vcc, v[2:3], v[7:8]
	s_and_b64 exec, exec, vcc
	s_cbranch_execz .LBB5_674
.LBB5_673:                              ; =>This Inner Loop Header: Depth=1
	s_sleep 1
	global_store_dwordx2 v[4:5], v[2:3], off
	s_waitcnt vmcnt(0)
	global_atomic_cmpswap_x2 v[7:8], v6, v[0:3], s[6:7] offset:24 glc
	s_waitcnt vmcnt(0)
	v_cmp_eq_u64_e32 vcc, v[7:8], v[2:3]
	v_mov_b32_e32 v2, v7
	s_or_b64 s[4:5], vcc, s[4:5]
	v_mov_b32_e32 v3, v8
	s_andn2_b64 exec, exec, s[4:5]
	s_cbranch_execnz .LBB5_673
.LBB5_674:
	s_or_b64 exec, exec, s[20:21]
.LBB5_675:
	v_readfirstlane_b32 s4, v32
	s_waitcnt vmcnt(0)
	v_mov_b32_e32 v5, 0
	v_mov_b32_e32 v6, 0
	v_cmp_eq_u32_e64 s[4:5], s4, v32
	s_and_saveexec_b64 s[18:19], s[4:5]
	s_cbranch_execz .LBB5_681
; %bb.676:
	v_mov_b32_e32 v0, 0
	global_load_dwordx2 v[3:4], v0, s[6:7] offset:24 glc
	s_waitcnt vmcnt(0)
	buffer_wbinvl1_vol
	global_load_dwordx2 v[1:2], v0, s[6:7] offset:40
	global_load_dwordx2 v[5:6], v0, s[6:7]
	s_waitcnt vmcnt(1)
	v_and_b32_e32 v1, v1, v3
	v_and_b32_e32 v2, v2, v4
	v_mul_lo_u32 v2, v2, 24
	v_mul_hi_u32 v7, v1, 24
	v_mul_lo_u32 v1, v1, 24
	v_add_u32_e32 v2, v7, v2
	s_waitcnt vmcnt(0)
	v_add_co_u32_e32 v1, vcc, v5, v1
	v_addc_co_u32_e32 v2, vcc, v6, v2, vcc
	global_load_dwordx2 v[1:2], v[1:2], off glc
	s_waitcnt vmcnt(0)
	global_atomic_cmpswap_x2 v[5:6], v0, v[1:4], s[6:7] offset:24 glc
	s_waitcnt vmcnt(0)
	buffer_wbinvl1_vol
	v_cmp_ne_u64_e32 vcc, v[5:6], v[3:4]
	s_and_saveexec_b64 s[20:21], vcc
	s_cbranch_execz .LBB5_680
; %bb.677:
	s_mov_b64 s[22:23], 0
.LBB5_678:                              ; =>This Inner Loop Header: Depth=1
	s_sleep 1
	global_load_dwordx2 v[1:2], v0, s[6:7] offset:40
	global_load_dwordx2 v[7:8], v0, s[6:7]
	v_mov_b32_e32 v3, v5
	v_mov_b32_e32 v4, v6
	s_waitcnt vmcnt(1)
	v_and_b32_e32 v1, v1, v3
	s_waitcnt vmcnt(0)
	v_mad_u64_u32 v[5:6], s[24:25], v1, 24, v[7:8]
	v_and_b32_e32 v2, v2, v4
	v_mov_b32_e32 v1, v6
	v_mad_u64_u32 v[1:2], s[24:25], v2, 24, v[1:2]
	v_mov_b32_e32 v6, v1
	global_load_dwordx2 v[1:2], v[5:6], off glc
	s_waitcnt vmcnt(0)
	global_atomic_cmpswap_x2 v[5:6], v0, v[1:4], s[6:7] offset:24 glc
	s_waitcnt vmcnt(0)
	buffer_wbinvl1_vol
	v_cmp_eq_u64_e32 vcc, v[5:6], v[3:4]
	s_or_b64 s[22:23], vcc, s[22:23]
	s_andn2_b64 exec, exec, s[22:23]
	s_cbranch_execnz .LBB5_678
; %bb.679:
	s_or_b64 exec, exec, s[22:23]
.LBB5_680:
	s_or_b64 exec, exec, s[20:21]
.LBB5_681:
	s_or_b64 exec, exec, s[18:19]
	v_mov_b32_e32 v4, 0
	global_load_dwordx2 v[7:8], v4, s[6:7] offset:40
	global_load_dwordx4 v[0:3], v4, s[6:7]
	v_readfirstlane_b32 s18, v5
	v_readfirstlane_b32 s19, v6
	s_mov_b64 s[20:21], exec
	s_waitcnt vmcnt(1)
	v_readfirstlane_b32 s22, v7
	v_readfirstlane_b32 s23, v8
	s_and_b64 s[22:23], s[18:19], s[22:23]
	s_mul_i32 s15, s23, 24
	s_mul_hi_u32 s24, s22, 24
	s_mul_i32 s25, s22, 24
	s_add_i32 s15, s24, s15
	v_mov_b32_e32 v5, s15
	s_waitcnt vmcnt(0)
	v_add_co_u32_e32 v7, vcc, s25, v0
	v_addc_co_u32_e32 v8, vcc, v1, v5, vcc
	s_and_saveexec_b64 s[24:25], s[4:5]
	s_cbranch_execz .LBB5_683
; %bb.682:
	v_mov_b32_e32 v9, s20
	v_mov_b32_e32 v10, s21
	;; [unrolled: 1-line block ×4, first 2 shown]
	global_store_dwordx4 v[7:8], v[9:12], off offset:8
.LBB5_683:
	s_or_b64 exec, exec, s[24:25]
	s_lshl_b64 s[20:21], s[22:23], 12
	v_mov_b32_e32 v5, s21
	v_add_co_u32_e32 v2, vcc, s20, v2
	v_addc_co_u32_e32 v11, vcc, v3, v5, vcc
	s_mov_b32 s20, 0
	v_mov_b32_e32 v3, 33
	v_mov_b32_e32 v5, v4
	;; [unrolled: 1-line block ×3, first 2 shown]
	v_readfirstlane_b32 s24, v2
	v_readfirstlane_b32 s25, v11
	v_add_co_u32_e32 v9, vcc, v2, v31
	s_mov_b32 s21, s20
	s_mov_b32 s22, s20
	;; [unrolled: 1-line block ×3, first 2 shown]
	s_nop 0
	global_store_dwordx4 v31, v[3:6], s[24:25]
	v_mov_b32_e32 v2, s20
	v_addc_co_u32_e32 v10, vcc, 0, v11, vcc
	v_mov_b32_e32 v3, s21
	v_mov_b32_e32 v4, s22
	;; [unrolled: 1-line block ×3, first 2 shown]
	global_store_dwordx4 v31, v[2:5], s[24:25] offset:16
	global_store_dwordx4 v31, v[2:5], s[24:25] offset:32
	;; [unrolled: 1-line block ×3, first 2 shown]
	s_and_saveexec_b64 s[20:21], s[4:5]
	s_cbranch_execz .LBB5_691
; %bb.684:
	v_mov_b32_e32 v6, 0
	global_load_dwordx2 v[13:14], v6, s[6:7] offset:32 glc
	global_load_dwordx2 v[2:3], v6, s[6:7] offset:40
	v_mov_b32_e32 v11, s18
	v_mov_b32_e32 v12, s19
	s_waitcnt vmcnt(0)
	v_readfirstlane_b32 s22, v2
	v_readfirstlane_b32 s23, v3
	s_and_b64 s[22:23], s[22:23], s[18:19]
	s_mul_i32 s15, s23, 24
	s_mul_hi_u32 s23, s22, 24
	s_mul_i32 s22, s22, 24
	s_add_i32 s15, s23, s15
	v_mov_b32_e32 v2, s15
	v_add_co_u32_e32 v4, vcc, s22, v0
	v_addc_co_u32_e32 v5, vcc, v1, v2, vcc
	global_store_dwordx2 v[4:5], v[13:14], off
	s_waitcnt vmcnt(0)
	global_atomic_cmpswap_x2 v[2:3], v6, v[11:14], s[6:7] offset:32 glc
	s_waitcnt vmcnt(0)
	v_cmp_ne_u64_e32 vcc, v[2:3], v[13:14]
	s_and_saveexec_b64 s[22:23], vcc
	s_cbranch_execz .LBB5_687
; %bb.685:
	s_mov_b64 s[24:25], 0
.LBB5_686:                              ; =>This Inner Loop Header: Depth=1
	s_sleep 1
	global_store_dwordx2 v[4:5], v[2:3], off
	v_mov_b32_e32 v0, s18
	v_mov_b32_e32 v1, s19
	s_waitcnt vmcnt(0)
	global_atomic_cmpswap_x2 v[0:1], v6, v[0:3], s[6:7] offset:32 glc
	s_waitcnt vmcnt(0)
	v_cmp_eq_u64_e32 vcc, v[0:1], v[2:3]
	v_mov_b32_e32 v3, v1
	s_or_b64 s[24:25], vcc, s[24:25]
	v_mov_b32_e32 v2, v0
	s_andn2_b64 exec, exec, s[24:25]
	s_cbranch_execnz .LBB5_686
.LBB5_687:
	s_or_b64 exec, exec, s[22:23]
	v_mov_b32_e32 v3, 0
	global_load_dwordx2 v[0:1], v3, s[6:7] offset:16
	s_mov_b64 s[22:23], exec
	v_mbcnt_lo_u32_b32 v2, s22, 0
	v_mbcnt_hi_u32_b32 v2, s23, v2
	v_cmp_eq_u32_e32 vcc, 0, v2
	s_and_saveexec_b64 s[24:25], vcc
	s_cbranch_execz .LBB5_689
; %bb.688:
	s_bcnt1_i32_b64 s15, s[22:23]
	v_mov_b32_e32 v2, s15
	s_waitcnt vmcnt(0)
	global_atomic_add_x2 v[0:1], v[2:3], off offset:8
.LBB5_689:
	s_or_b64 exec, exec, s[24:25]
	s_waitcnt vmcnt(0)
	global_load_dwordx2 v[2:3], v[0:1], off offset:16
	s_waitcnt vmcnt(0)
	v_cmp_eq_u64_e32 vcc, 0, v[2:3]
	s_cbranch_vccnz .LBB5_691
; %bb.690:
	global_load_dword v0, v[0:1], off offset:24
	v_mov_b32_e32 v1, 0
	s_waitcnt vmcnt(0)
	global_store_dwordx2 v[2:3], v[0:1], off
	v_and_b32_e32 v0, 0xffffff, v0
	v_readfirstlane_b32 m0, v0
	s_sendmsg sendmsg(MSG_INTERRUPT)
.LBB5_691:
	s_or_b64 exec, exec, s[20:21]
	s_branch .LBB5_695
.LBB5_692:                              ;   in Loop: Header=BB5_695 Depth=1
	s_or_b64 exec, exec, s[20:21]
	v_readfirstlane_b32 s15, v0
	s_cmp_eq_u32 s15, 0
	s_cbranch_scc1 .LBB5_694
; %bb.693:                              ;   in Loop: Header=BB5_695 Depth=1
	s_sleep 1
	s_cbranch_execnz .LBB5_695
	s_branch .LBB5_697
.LBB5_694:
	s_branch .LBB5_697
.LBB5_695:                              ; =>This Inner Loop Header: Depth=1
	v_mov_b32_e32 v0, 1
	s_and_saveexec_b64 s[20:21], s[4:5]
	s_cbranch_execz .LBB5_692
; %bb.696:                              ;   in Loop: Header=BB5_695 Depth=1
	global_load_dword v0, v[7:8], off offset:20 glc
	s_waitcnt vmcnt(0)
	buffer_wbinvl1_vol
	v_and_b32_e32 v0, 1, v0
	s_branch .LBB5_692
.LBB5_697:
	global_load_dwordx2 v[0:1], v[9:10], off
	s_and_saveexec_b64 s[20:21], s[4:5]
	s_cbranch_execz .LBB5_700
; %bb.698:
	v_mov_b32_e32 v8, 0
	global_load_dwordx2 v[4:5], v8, s[6:7] offset:40
	global_load_dwordx2 v[9:10], v8, s[6:7] offset:24 glc
	global_load_dwordx2 v[6:7], v8, s[6:7]
	v_mov_b32_e32 v3, s19
	s_mov_b64 s[4:5], 0
	s_waitcnt vmcnt(2)
	v_add_co_u32_e32 v11, vcc, 1, v4
	v_addc_co_u32_e32 v12, vcc, 0, v5, vcc
	v_add_co_u32_e32 v2, vcc, s18, v11
	v_addc_co_u32_e32 v3, vcc, v12, v3, vcc
	v_cmp_eq_u64_e32 vcc, 0, v[2:3]
	v_cndmask_b32_e32 v3, v3, v12, vcc
	v_cndmask_b32_e32 v2, v2, v11, vcc
	v_and_b32_e32 v5, v3, v5
	v_and_b32_e32 v4, v2, v4
	v_mul_lo_u32 v5, v5, 24
	v_mul_hi_u32 v11, v4, 24
	v_mul_lo_u32 v12, v4, 24
	s_waitcnt vmcnt(1)
	v_mov_b32_e32 v4, v9
	v_add_u32_e32 v5, v11, v5
	s_waitcnt vmcnt(0)
	v_add_co_u32_e32 v6, vcc, v6, v12
	v_addc_co_u32_e32 v7, vcc, v7, v5, vcc
	global_store_dwordx2 v[6:7], v[9:10], off
	v_mov_b32_e32 v5, v10
	s_waitcnt vmcnt(0)
	global_atomic_cmpswap_x2 v[4:5], v8, v[2:5], s[6:7] offset:24 glc
	s_waitcnt vmcnt(0)
	v_cmp_ne_u64_e32 vcc, v[4:5], v[9:10]
	s_and_b64 exec, exec, vcc
	s_cbranch_execz .LBB5_700
.LBB5_699:                              ; =>This Inner Loop Header: Depth=1
	s_sleep 1
	global_store_dwordx2 v[6:7], v[4:5], off
	s_waitcnt vmcnt(0)
	global_atomic_cmpswap_x2 v[9:10], v8, v[2:5], s[6:7] offset:24 glc
	s_waitcnt vmcnt(0)
	v_cmp_eq_u64_e32 vcc, v[9:10], v[4:5]
	v_mov_b32_e32 v4, v9
	s_or_b64 s[4:5], vcc, s[4:5]
	v_mov_b32_e32 v5, v10
	s_andn2_b64 exec, exec, s[4:5]
	s_cbranch_execnz .LBB5_699
.LBB5_700:
	s_or_b64 exec, exec, s[20:21]
	s_and_b64 vcc, exec, s[16:17]
	s_cbranch_vccz .LBB5_785
; %bb.701:
	s_waitcnt vmcnt(0)
	v_and_b32_e32 v33, 2, v0
	v_mov_b32_e32 v28, 0
	v_and_b32_e32 v2, -3, v0
	v_mov_b32_e32 v3, v1
	s_mov_b64 s[20:21], 3
	v_mov_b32_e32 v6, 2
	v_mov_b32_e32 v7, 1
	s_getpc_b64 s[18:19]
	s_add_u32 s18, s18, .str.6@rel32@lo+4
	s_addc_u32 s19, s19, .str.6@rel32@hi+12
	s_branch .LBB5_703
.LBB5_702:                              ;   in Loop: Header=BB5_703 Depth=1
	s_or_b64 exec, exec, s[26:27]
	s_sub_u32 s20, s20, s22
	s_subb_u32 s21, s21, s23
	s_add_u32 s18, s18, s22
	s_addc_u32 s19, s19, s23
	s_cmp_lg_u64 s[20:21], 0
	s_cbranch_scc0 .LBB5_784
.LBB5_703:                              ; =>This Loop Header: Depth=1
                                        ;     Child Loop BB5_706 Depth 2
                                        ;     Child Loop BB5_713 Depth 2
                                        ;     Child Loop BB5_721 Depth 2
                                        ;     Child Loop BB5_729 Depth 2
                                        ;     Child Loop BB5_737 Depth 2
                                        ;     Child Loop BB5_745 Depth 2
                                        ;     Child Loop BB5_753 Depth 2
                                        ;     Child Loop BB5_761 Depth 2
                                        ;     Child Loop BB5_769 Depth 2
                                        ;     Child Loop BB5_778 Depth 2
                                        ;     Child Loop BB5_783 Depth 2
	v_cmp_lt_u64_e64 s[4:5], s[20:21], 56
	v_cmp_gt_u64_e64 s[24:25], s[20:21], 7
	s_and_b64 s[4:5], s[4:5], exec
	s_cselect_b32 s23, s21, 0
	s_cselect_b32 s22, s20, 56
	s_and_b64 vcc, exec, s[24:25]
	s_cbranch_vccnz .LBB5_708
; %bb.704:                              ;   in Loop: Header=BB5_703 Depth=1
	v_mov_b32_e32 v10, 0
	s_cmp_eq_u64 s[20:21], 0
	v_mov_b32_e32 v11, 0
	s_mov_b64 s[4:5], 0
	s_cbranch_scc1 .LBB5_707
; %bb.705:                              ;   in Loop: Header=BB5_703 Depth=1
	v_mov_b32_e32 v10, 0
	s_lshl_b64 s[24:25], s[22:23], 3
	s_mov_b64 s[26:27], 0
	v_mov_b32_e32 v11, 0
	s_mov_b64 s[28:29], s[18:19]
.LBB5_706:                              ;   Parent Loop BB5_703 Depth=1
                                        ; =>  This Inner Loop Header: Depth=2
	global_load_ubyte v4, v28, s[28:29]
	s_waitcnt vmcnt(0)
	v_and_b32_e32 v27, 0xffff, v4
	v_lshlrev_b64 v[4:5], s26, v[27:28]
	s_add_u32 s26, s26, 8
	s_addc_u32 s27, s27, 0
	s_add_u32 s28, s28, 1
	s_addc_u32 s29, s29, 0
	v_or_b32_e32 v10, v4, v10
	s_cmp_lg_u32 s24, s26
	v_or_b32_e32 v11, v5, v11
	s_cbranch_scc1 .LBB5_706
.LBB5_707:                              ;   in Loop: Header=BB5_703 Depth=1
	s_mov_b32 s15, 0
	s_andn2_b64 vcc, exec, s[4:5]
	s_mov_b64 s[4:5], s[18:19]
	s_cbranch_vccz .LBB5_709
	s_branch .LBB5_710
.LBB5_708:                              ;   in Loop: Header=BB5_703 Depth=1
                                        ; implicit-def: $vgpr10_vgpr11
                                        ; implicit-def: $sgpr15
	s_mov_b64 s[4:5], s[18:19]
.LBB5_709:                              ;   in Loop: Header=BB5_703 Depth=1
	global_load_dwordx2 v[10:11], v28, s[18:19]
	s_add_i32 s15, s22, -8
	s_add_u32 s4, s18, 8
	s_addc_u32 s5, s19, 0
.LBB5_710:                              ;   in Loop: Header=BB5_703 Depth=1
	s_cmp_gt_u32 s15, 7
	s_cbranch_scc1 .LBB5_714
; %bb.711:                              ;   in Loop: Header=BB5_703 Depth=1
	s_cmp_eq_u32 s15, 0
	s_cbranch_scc1 .LBB5_715
; %bb.712:                              ;   in Loop: Header=BB5_703 Depth=1
	v_mov_b32_e32 v12, 0
	s_mov_b64 s[24:25], 0
	v_mov_b32_e32 v13, 0
	s_mov_b64 s[26:27], 0
.LBB5_713:                              ;   Parent Loop BB5_703 Depth=1
                                        ; =>  This Inner Loop Header: Depth=2
	s_add_u32 s28, s4, s26
	s_addc_u32 s29, s5, s27
	global_load_ubyte v4, v28, s[28:29]
	s_add_u32 s26, s26, 1
	s_addc_u32 s27, s27, 0
	s_waitcnt vmcnt(0)
	v_and_b32_e32 v27, 0xffff, v4
	v_lshlrev_b64 v[4:5], s24, v[27:28]
	s_add_u32 s24, s24, 8
	s_addc_u32 s25, s25, 0
	v_or_b32_e32 v12, v4, v12
	s_cmp_lg_u32 s15, s26
	v_or_b32_e32 v13, v5, v13
	s_cbranch_scc1 .LBB5_713
	s_branch .LBB5_716
.LBB5_714:                              ;   in Loop: Header=BB5_703 Depth=1
                                        ; implicit-def: $vgpr12_vgpr13
                                        ; implicit-def: $sgpr28
	s_branch .LBB5_717
.LBB5_715:                              ;   in Loop: Header=BB5_703 Depth=1
	v_mov_b32_e32 v12, 0
	v_mov_b32_e32 v13, 0
.LBB5_716:                              ;   in Loop: Header=BB5_703 Depth=1
	s_mov_b32 s28, 0
	s_cbranch_execnz .LBB5_718
.LBB5_717:                              ;   in Loop: Header=BB5_703 Depth=1
	global_load_dwordx2 v[12:13], v28, s[4:5]
	s_add_i32 s28, s15, -8
	s_add_u32 s4, s4, 8
	s_addc_u32 s5, s5, 0
.LBB5_718:                              ;   in Loop: Header=BB5_703 Depth=1
	s_cmp_gt_u32 s28, 7
	s_cbranch_scc1 .LBB5_722
; %bb.719:                              ;   in Loop: Header=BB5_703 Depth=1
	s_cmp_eq_u32 s28, 0
	s_cbranch_scc1 .LBB5_723
; %bb.720:                              ;   in Loop: Header=BB5_703 Depth=1
	v_mov_b32_e32 v14, 0
	s_mov_b64 s[24:25], 0
	v_mov_b32_e32 v15, 0
	s_mov_b64 s[26:27], 0
.LBB5_721:                              ;   Parent Loop BB5_703 Depth=1
                                        ; =>  This Inner Loop Header: Depth=2
	s_add_u32 vcc_lo, s4, s26
	s_addc_u32 vcc_hi, s5, s27
	global_load_ubyte v4, v28, vcc
	s_add_u32 s26, s26, 1
	s_addc_u32 s27, s27, 0
	s_waitcnt vmcnt(0)
	v_and_b32_e32 v27, 0xffff, v4
	v_lshlrev_b64 v[4:5], s24, v[27:28]
	s_add_u32 s24, s24, 8
	s_addc_u32 s25, s25, 0
	v_or_b32_e32 v14, v4, v14
	s_cmp_lg_u32 s28, s26
	v_or_b32_e32 v15, v5, v15
	s_cbranch_scc1 .LBB5_721
	s_branch .LBB5_724
.LBB5_722:                              ;   in Loop: Header=BB5_703 Depth=1
                                        ; implicit-def: $sgpr15
	s_branch .LBB5_725
.LBB5_723:                              ;   in Loop: Header=BB5_703 Depth=1
	v_mov_b32_e32 v14, 0
	v_mov_b32_e32 v15, 0
.LBB5_724:                              ;   in Loop: Header=BB5_703 Depth=1
	s_mov_b32 s15, 0
	s_cbranch_execnz .LBB5_726
.LBB5_725:                              ;   in Loop: Header=BB5_703 Depth=1
	global_load_dwordx2 v[14:15], v28, s[4:5]
	s_add_i32 s15, s28, -8
	s_add_u32 s4, s4, 8
	s_addc_u32 s5, s5, 0
.LBB5_726:                              ;   in Loop: Header=BB5_703 Depth=1
	s_cmp_gt_u32 s15, 7
	s_cbranch_scc1 .LBB5_730
; %bb.727:                              ;   in Loop: Header=BB5_703 Depth=1
	s_cmp_eq_u32 s15, 0
	s_cbranch_scc1 .LBB5_731
; %bb.728:                              ;   in Loop: Header=BB5_703 Depth=1
	v_mov_b32_e32 v16, 0
	s_mov_b64 s[24:25], 0
	v_mov_b32_e32 v17, 0
	s_mov_b64 s[26:27], 0
.LBB5_729:                              ;   Parent Loop BB5_703 Depth=1
                                        ; =>  This Inner Loop Header: Depth=2
	s_add_u32 s28, s4, s26
	s_addc_u32 s29, s5, s27
	global_load_ubyte v4, v28, s[28:29]
	s_add_u32 s26, s26, 1
	s_addc_u32 s27, s27, 0
	s_waitcnt vmcnt(0)
	v_and_b32_e32 v27, 0xffff, v4
	v_lshlrev_b64 v[4:5], s24, v[27:28]
	s_add_u32 s24, s24, 8
	s_addc_u32 s25, s25, 0
	v_or_b32_e32 v16, v4, v16
	s_cmp_lg_u32 s15, s26
	v_or_b32_e32 v17, v5, v17
	s_cbranch_scc1 .LBB5_729
	s_branch .LBB5_732
.LBB5_730:                              ;   in Loop: Header=BB5_703 Depth=1
                                        ; implicit-def: $vgpr16_vgpr17
                                        ; implicit-def: $sgpr28
	s_branch .LBB5_733
.LBB5_731:                              ;   in Loop: Header=BB5_703 Depth=1
	v_mov_b32_e32 v16, 0
	v_mov_b32_e32 v17, 0
.LBB5_732:                              ;   in Loop: Header=BB5_703 Depth=1
	s_mov_b32 s28, 0
	s_cbranch_execnz .LBB5_734
.LBB5_733:                              ;   in Loop: Header=BB5_703 Depth=1
	global_load_dwordx2 v[16:17], v28, s[4:5]
	s_add_i32 s28, s15, -8
	s_add_u32 s4, s4, 8
	s_addc_u32 s5, s5, 0
.LBB5_734:                              ;   in Loop: Header=BB5_703 Depth=1
	s_cmp_gt_u32 s28, 7
	s_cbranch_scc1 .LBB5_738
; %bb.735:                              ;   in Loop: Header=BB5_703 Depth=1
	s_cmp_eq_u32 s28, 0
	s_cbranch_scc1 .LBB5_739
; %bb.736:                              ;   in Loop: Header=BB5_703 Depth=1
	v_mov_b32_e32 v18, 0
	s_mov_b64 s[24:25], 0
	v_mov_b32_e32 v19, 0
	s_mov_b64 s[26:27], 0
.LBB5_737:                              ;   Parent Loop BB5_703 Depth=1
                                        ; =>  This Inner Loop Header: Depth=2
	s_add_u32 vcc_lo, s4, s26
	s_addc_u32 vcc_hi, s5, s27
	global_load_ubyte v4, v28, vcc
	s_add_u32 s26, s26, 1
	s_addc_u32 s27, s27, 0
	s_waitcnt vmcnt(0)
	v_and_b32_e32 v27, 0xffff, v4
	v_lshlrev_b64 v[4:5], s24, v[27:28]
	s_add_u32 s24, s24, 8
	s_addc_u32 s25, s25, 0
	v_or_b32_e32 v18, v4, v18
	s_cmp_lg_u32 s28, s26
	v_or_b32_e32 v19, v5, v19
	s_cbranch_scc1 .LBB5_737
	s_branch .LBB5_740
.LBB5_738:                              ;   in Loop: Header=BB5_703 Depth=1
                                        ; implicit-def: $sgpr15
	s_branch .LBB5_741
.LBB5_739:                              ;   in Loop: Header=BB5_703 Depth=1
	v_mov_b32_e32 v18, 0
	v_mov_b32_e32 v19, 0
.LBB5_740:                              ;   in Loop: Header=BB5_703 Depth=1
	s_mov_b32 s15, 0
	s_cbranch_execnz .LBB5_742
.LBB5_741:                              ;   in Loop: Header=BB5_703 Depth=1
	global_load_dwordx2 v[18:19], v28, s[4:5]
	s_add_i32 s15, s28, -8
	s_add_u32 s4, s4, 8
	s_addc_u32 s5, s5, 0
.LBB5_742:                              ;   in Loop: Header=BB5_703 Depth=1
	s_cmp_gt_u32 s15, 7
	s_cbranch_scc1 .LBB5_746
; %bb.743:                              ;   in Loop: Header=BB5_703 Depth=1
	s_cmp_eq_u32 s15, 0
	s_cbranch_scc1 .LBB5_747
; %bb.744:                              ;   in Loop: Header=BB5_703 Depth=1
	v_mov_b32_e32 v20, 0
	s_mov_b64 s[24:25], 0
	v_mov_b32_e32 v21, 0
	s_mov_b64 s[26:27], 0
.LBB5_745:                              ;   Parent Loop BB5_703 Depth=1
                                        ; =>  This Inner Loop Header: Depth=2
	s_add_u32 s28, s4, s26
	s_addc_u32 s29, s5, s27
	global_load_ubyte v4, v28, s[28:29]
	s_add_u32 s26, s26, 1
	s_addc_u32 s27, s27, 0
	s_waitcnt vmcnt(0)
	v_and_b32_e32 v27, 0xffff, v4
	v_lshlrev_b64 v[4:5], s24, v[27:28]
	s_add_u32 s24, s24, 8
	s_addc_u32 s25, s25, 0
	v_or_b32_e32 v20, v4, v20
	s_cmp_lg_u32 s15, s26
	v_or_b32_e32 v21, v5, v21
	s_cbranch_scc1 .LBB5_745
	s_branch .LBB5_748
.LBB5_746:                              ;   in Loop: Header=BB5_703 Depth=1
                                        ; implicit-def: $vgpr20_vgpr21
                                        ; implicit-def: $sgpr28
	s_branch .LBB5_749
.LBB5_747:                              ;   in Loop: Header=BB5_703 Depth=1
	v_mov_b32_e32 v20, 0
	v_mov_b32_e32 v21, 0
.LBB5_748:                              ;   in Loop: Header=BB5_703 Depth=1
	s_mov_b32 s28, 0
	s_cbranch_execnz .LBB5_750
.LBB5_749:                              ;   in Loop: Header=BB5_703 Depth=1
	global_load_dwordx2 v[20:21], v28, s[4:5]
	s_add_i32 s28, s15, -8
	s_add_u32 s4, s4, 8
	s_addc_u32 s5, s5, 0
.LBB5_750:                              ;   in Loop: Header=BB5_703 Depth=1
	s_cmp_gt_u32 s28, 7
	s_cbranch_scc1 .LBB5_754
; %bb.751:                              ;   in Loop: Header=BB5_703 Depth=1
	s_cmp_eq_u32 s28, 0
	s_cbranch_scc1 .LBB5_755
; %bb.752:                              ;   in Loop: Header=BB5_703 Depth=1
	v_mov_b32_e32 v22, 0
	s_mov_b64 s[24:25], 0
	v_mov_b32_e32 v23, 0
	s_mov_b64 s[26:27], s[4:5]
.LBB5_753:                              ;   Parent Loop BB5_703 Depth=1
                                        ; =>  This Inner Loop Header: Depth=2
	global_load_ubyte v4, v28, s[26:27]
	s_add_i32 s28, s28, -1
	s_waitcnt vmcnt(0)
	v_and_b32_e32 v27, 0xffff, v4
	v_lshlrev_b64 v[4:5], s24, v[27:28]
	s_add_u32 s24, s24, 8
	s_addc_u32 s25, s25, 0
	s_add_u32 s26, s26, 1
	s_addc_u32 s27, s27, 0
	v_or_b32_e32 v22, v4, v22
	s_cmp_lg_u32 s28, 0
	v_or_b32_e32 v23, v5, v23
	s_cbranch_scc1 .LBB5_753
	s_branch .LBB5_756
.LBB5_754:                              ;   in Loop: Header=BB5_703 Depth=1
	s_branch .LBB5_757
.LBB5_755:                              ;   in Loop: Header=BB5_703 Depth=1
	v_mov_b32_e32 v22, 0
	v_mov_b32_e32 v23, 0
.LBB5_756:                              ;   in Loop: Header=BB5_703 Depth=1
	s_cbranch_execnz .LBB5_758
.LBB5_757:                              ;   in Loop: Header=BB5_703 Depth=1
	global_load_dwordx2 v[22:23], v28, s[4:5]
.LBB5_758:                              ;   in Loop: Header=BB5_703 Depth=1
	v_readfirstlane_b32 s4, v32
	s_waitcnt vmcnt(0)
	v_mov_b32_e32 v4, 0
	v_mov_b32_e32 v5, 0
	v_cmp_eq_u32_e64 s[4:5], s4, v32
	s_and_saveexec_b64 s[24:25], s[4:5]
	s_cbranch_execz .LBB5_764
; %bb.759:                              ;   in Loop: Header=BB5_703 Depth=1
	global_load_dwordx2 v[26:27], v28, s[6:7] offset:24 glc
	s_waitcnt vmcnt(0)
	buffer_wbinvl1_vol
	global_load_dwordx2 v[4:5], v28, s[6:7] offset:40
	global_load_dwordx2 v[8:9], v28, s[6:7]
	s_waitcnt vmcnt(1)
	v_and_b32_e32 v4, v4, v26
	v_and_b32_e32 v5, v5, v27
	v_mul_lo_u32 v5, v5, 24
	v_mul_hi_u32 v24, v4, 24
	v_mul_lo_u32 v4, v4, 24
	v_add_u32_e32 v5, v24, v5
	s_waitcnt vmcnt(0)
	v_add_co_u32_e32 v4, vcc, v8, v4
	v_addc_co_u32_e32 v5, vcc, v9, v5, vcc
	global_load_dwordx2 v[24:25], v[4:5], off glc
	s_waitcnt vmcnt(0)
	global_atomic_cmpswap_x2 v[4:5], v28, v[24:27], s[6:7] offset:24 glc
	s_waitcnt vmcnt(0)
	buffer_wbinvl1_vol
	v_cmp_ne_u64_e32 vcc, v[4:5], v[26:27]
	s_and_saveexec_b64 s[26:27], vcc
	s_cbranch_execz .LBB5_763
; %bb.760:                              ;   in Loop: Header=BB5_703 Depth=1
	s_mov_b64 s[28:29], 0
.LBB5_761:                              ;   Parent Loop BB5_703 Depth=1
                                        ; =>  This Inner Loop Header: Depth=2
	s_sleep 1
	global_load_dwordx2 v[8:9], v28, s[6:7] offset:40
	global_load_dwordx2 v[24:25], v28, s[6:7]
	v_mov_b32_e32 v27, v5
	v_mov_b32_e32 v26, v4
	s_waitcnt vmcnt(1)
	v_and_b32_e32 v4, v8, v26
	s_waitcnt vmcnt(0)
	v_mad_u64_u32 v[4:5], vcc, v4, 24, v[24:25]
	v_and_b32_e32 v8, v9, v27
	v_mad_u64_u32 v[8:9], vcc, v8, 24, v[5:6]
	v_mov_b32_e32 v5, v8
	global_load_dwordx2 v[24:25], v[4:5], off glc
	s_waitcnt vmcnt(0)
	global_atomic_cmpswap_x2 v[4:5], v28, v[24:27], s[6:7] offset:24 glc
	s_waitcnt vmcnt(0)
	buffer_wbinvl1_vol
	v_cmp_eq_u64_e32 vcc, v[4:5], v[26:27]
	s_or_b64 s[28:29], vcc, s[28:29]
	s_andn2_b64 exec, exec, s[28:29]
	s_cbranch_execnz .LBB5_761
; %bb.762:                              ;   in Loop: Header=BB5_703 Depth=1
	s_or_b64 exec, exec, s[28:29]
.LBB5_763:                              ;   in Loop: Header=BB5_703 Depth=1
	s_or_b64 exec, exec, s[26:27]
.LBB5_764:                              ;   in Loop: Header=BB5_703 Depth=1
	s_or_b64 exec, exec, s[24:25]
	global_load_dwordx2 v[8:9], v28, s[6:7] offset:40
	global_load_dwordx4 v[24:27], v28, s[6:7]
	v_readfirstlane_b32 s24, v4
	v_readfirstlane_b32 s25, v5
	s_mov_b64 s[26:27], exec
	s_waitcnt vmcnt(1)
	v_readfirstlane_b32 s28, v8
	v_readfirstlane_b32 s29, v9
	s_and_b64 s[28:29], s[24:25], s[28:29]
	s_mul_i32 s15, s29, 24
	s_mul_hi_u32 vcc_lo, s28, 24
	s_mul_i32 vcc_hi, s28, 24
	s_add_i32 s15, vcc_lo, s15
	v_mov_b32_e32 v4, s15
	s_waitcnt vmcnt(0)
	v_add_co_u32_e32 v29, vcc, vcc_hi, v24
	v_addc_co_u32_e32 v30, vcc, v25, v4, vcc
	s_and_saveexec_b64 vcc, s[4:5]
	s_cbranch_execz .LBB5_766
; %bb.765:                              ;   in Loop: Header=BB5_703 Depth=1
	v_mov_b32_e32 v4, s26
	v_mov_b32_e32 v5, s27
	global_store_dwordx4 v[29:30], v[4:7], off offset:8
.LBB5_766:                              ;   in Loop: Header=BB5_703 Depth=1
	s_or_b64 exec, exec, vcc
	s_lshl_b64 s[26:27], s[28:29], 12
	v_mov_b32_e32 v4, s27
	v_add_co_u32_e32 v26, vcc, s26, v26
	v_addc_co_u32_e32 v34, vcc, v27, v4, vcc
	v_cmp_gt_u64_e64 vcc, s[20:21], 56
	v_or_b32_e32 v5, v2, v33
	s_lshl_b32 s15, s22, 2
	v_cndmask_b32_e32 v2, v5, v2, vcc
	s_add_i32 s15, s15, 28
	v_or_b32_e32 v4, 0, v3
	s_and_b32 s15, s15, 0x1e0
	v_and_b32_e32 v2, 0xffffff1f, v2
	v_cndmask_b32_e32 v9, v4, v3, vcc
	v_or_b32_e32 v8, s15, v2
	v_readfirstlane_b32 s26, v26
	v_readfirstlane_b32 s27, v34
	s_nop 4
	global_store_dwordx4 v31, v[8:11], s[26:27]
	global_store_dwordx4 v31, v[12:15], s[26:27] offset:16
	global_store_dwordx4 v31, v[16:19], s[26:27] offset:32
	;; [unrolled: 1-line block ×3, first 2 shown]
	s_and_saveexec_b64 s[26:27], s[4:5]
	s_cbranch_execz .LBB5_774
; %bb.767:                              ;   in Loop: Header=BB5_703 Depth=1
	global_load_dwordx2 v[12:13], v28, s[6:7] offset:32 glc
	global_load_dwordx2 v[2:3], v28, s[6:7] offset:40
	v_mov_b32_e32 v10, s24
	v_mov_b32_e32 v11, s25
	s_waitcnt vmcnt(0)
	v_readfirstlane_b32 s28, v2
	v_readfirstlane_b32 s29, v3
	s_and_b64 s[28:29], s[28:29], s[24:25]
	s_mul_i32 s15, s29, 24
	s_mul_hi_u32 s29, s28, 24
	s_mul_i32 s28, s28, 24
	s_add_i32 s15, s29, s15
	v_mov_b32_e32 v2, s15
	v_add_co_u32_e32 v8, vcc, s28, v24
	v_addc_co_u32_e32 v9, vcc, v25, v2, vcc
	global_store_dwordx2 v[8:9], v[12:13], off
	s_waitcnt vmcnt(0)
	global_atomic_cmpswap_x2 v[4:5], v28, v[10:13], s[6:7] offset:32 glc
	s_waitcnt vmcnt(0)
	v_cmp_ne_u64_e32 vcc, v[4:5], v[12:13]
	s_and_saveexec_b64 s[28:29], vcc
	s_cbranch_execz .LBB5_770
; %bb.768:                              ;   in Loop: Header=BB5_703 Depth=1
	s_mov_b64 s[30:31], 0
.LBB5_769:                              ;   Parent Loop BB5_703 Depth=1
                                        ; =>  This Inner Loop Header: Depth=2
	s_sleep 1
	global_store_dwordx2 v[8:9], v[4:5], off
	v_mov_b32_e32 v2, s24
	v_mov_b32_e32 v3, s25
	s_waitcnt vmcnt(0)
	global_atomic_cmpswap_x2 v[2:3], v28, v[2:5], s[6:7] offset:32 glc
	s_waitcnt vmcnt(0)
	v_cmp_eq_u64_e32 vcc, v[2:3], v[4:5]
	v_mov_b32_e32 v5, v3
	s_or_b64 s[30:31], vcc, s[30:31]
	v_mov_b32_e32 v4, v2
	s_andn2_b64 exec, exec, s[30:31]
	s_cbranch_execnz .LBB5_769
.LBB5_770:                              ;   in Loop: Header=BB5_703 Depth=1
	s_or_b64 exec, exec, s[28:29]
	global_load_dwordx2 v[2:3], v28, s[6:7] offset:16
	s_mov_b64 s[30:31], exec
	v_mbcnt_lo_u32_b32 v4, s30, 0
	v_mbcnt_hi_u32_b32 v4, s31, v4
	v_cmp_eq_u32_e32 vcc, 0, v4
	s_and_saveexec_b64 s[28:29], vcc
	s_cbranch_execz .LBB5_772
; %bb.771:                              ;   in Loop: Header=BB5_703 Depth=1
	s_bcnt1_i32_b64 s15, s[30:31]
	v_mov_b32_e32 v27, s15
	s_waitcnt vmcnt(0)
	global_atomic_add_x2 v[2:3], v[27:28], off offset:8
.LBB5_772:                              ;   in Loop: Header=BB5_703 Depth=1
	s_or_b64 exec, exec, s[28:29]
	s_waitcnt vmcnt(0)
	global_load_dwordx2 v[4:5], v[2:3], off offset:16
	s_waitcnt vmcnt(0)
	v_cmp_eq_u64_e32 vcc, 0, v[4:5]
	s_cbranch_vccnz .LBB5_774
; %bb.773:                              ;   in Loop: Header=BB5_703 Depth=1
	global_load_dword v27, v[2:3], off offset:24
	s_waitcnt vmcnt(0)
	v_and_b32_e32 v2, 0xffffff, v27
	v_readfirstlane_b32 m0, v2
	global_store_dwordx2 v[4:5], v[27:28], off
	s_sendmsg sendmsg(MSG_INTERRUPT)
.LBB5_774:                              ;   in Loop: Header=BB5_703 Depth=1
	s_or_b64 exec, exec, s[26:27]
	v_add_co_u32_e32 v2, vcc, v26, v31
	v_addc_co_u32_e32 v3, vcc, 0, v34, vcc
	s_branch .LBB5_778
.LBB5_775:                              ;   in Loop: Header=BB5_778 Depth=2
	s_or_b64 exec, exec, s[26:27]
	v_readfirstlane_b32 s15, v4
	s_cmp_eq_u32 s15, 0
	s_cbranch_scc1 .LBB5_777
; %bb.776:                              ;   in Loop: Header=BB5_778 Depth=2
	s_sleep 1
	s_cbranch_execnz .LBB5_778
	s_branch .LBB5_780
.LBB5_777:                              ;   in Loop: Header=BB5_703 Depth=1
	s_branch .LBB5_780
.LBB5_778:                              ;   Parent Loop BB5_703 Depth=1
                                        ; =>  This Inner Loop Header: Depth=2
	v_mov_b32_e32 v4, 1
	s_and_saveexec_b64 s[26:27], s[4:5]
	s_cbranch_execz .LBB5_775
; %bb.779:                              ;   in Loop: Header=BB5_778 Depth=2
	global_load_dword v4, v[29:30], off offset:20 glc
	s_waitcnt vmcnt(0)
	buffer_wbinvl1_vol
	v_and_b32_e32 v4, 1, v4
	s_branch .LBB5_775
.LBB5_780:                              ;   in Loop: Header=BB5_703 Depth=1
	global_load_dwordx4 v[2:5], v[2:3], off
	s_and_saveexec_b64 s[26:27], s[4:5]
	s_cbranch_execz .LBB5_702
; %bb.781:                              ;   in Loop: Header=BB5_703 Depth=1
	global_load_dwordx2 v[4:5], v28, s[6:7] offset:40
	global_load_dwordx2 v[12:13], v28, s[6:7] offset:24 glc
	global_load_dwordx2 v[14:15], v28, s[6:7]
	v_mov_b32_e32 v9, s25
	s_waitcnt vmcnt(2)
	v_add_co_u32_e32 v10, vcc, 1, v4
	v_addc_co_u32_e32 v11, vcc, 0, v5, vcc
	v_add_co_u32_e32 v8, vcc, s24, v10
	v_addc_co_u32_e32 v9, vcc, v11, v9, vcc
	v_cmp_eq_u64_e32 vcc, 0, v[8:9]
	v_cndmask_b32_e32 v9, v9, v11, vcc
	v_cndmask_b32_e32 v8, v8, v10, vcc
	v_and_b32_e32 v5, v9, v5
	v_and_b32_e32 v4, v8, v4
	v_mul_lo_u32 v5, v5, 24
	v_mul_hi_u32 v11, v4, 24
	v_mul_lo_u32 v4, v4, 24
	s_waitcnt vmcnt(1)
	v_mov_b32_e32 v10, v12
	v_add_u32_e32 v5, v11, v5
	s_waitcnt vmcnt(0)
	v_add_co_u32_e32 v4, vcc, v14, v4
	v_addc_co_u32_e32 v5, vcc, v15, v5, vcc
	global_store_dwordx2 v[4:5], v[12:13], off
	v_mov_b32_e32 v11, v13
	s_waitcnt vmcnt(0)
	global_atomic_cmpswap_x2 v[10:11], v28, v[8:11], s[6:7] offset:24 glc
	s_waitcnt vmcnt(0)
	v_cmp_ne_u64_e32 vcc, v[10:11], v[12:13]
	s_and_b64 exec, exec, vcc
	s_cbranch_execz .LBB5_702
; %bb.782:                              ;   in Loop: Header=BB5_703 Depth=1
	s_mov_b64 s[4:5], 0
.LBB5_783:                              ;   Parent Loop BB5_703 Depth=1
                                        ; =>  This Inner Loop Header: Depth=2
	s_sleep 1
	global_store_dwordx2 v[4:5], v[10:11], off
	s_waitcnt vmcnt(0)
	global_atomic_cmpswap_x2 v[12:13], v28, v[8:11], s[6:7] offset:24 glc
	s_waitcnt vmcnt(0)
	v_cmp_eq_u64_e32 vcc, v[12:13], v[10:11]
	v_mov_b32_e32 v10, v12
	s_or_b64 s[4:5], vcc, s[4:5]
	v_mov_b32_e32 v11, v13
	s_andn2_b64 exec, exec, s[4:5]
	s_cbranch_execnz .LBB5_783
	s_branch .LBB5_702
.LBB5_784:
	s_branch .LBB5_812
.LBB5_785:
                                        ; implicit-def: $vgpr2_vgpr3
	s_cbranch_execz .LBB5_812
; %bb.786:
	v_readfirstlane_b32 s4, v32
	v_mov_b32_e32 v8, 0
	v_mov_b32_e32 v9, 0
	v_cmp_eq_u32_e64 s[4:5], s4, v32
	s_and_saveexec_b64 s[18:19], s[4:5]
	s_cbranch_execz .LBB5_792
; %bb.787:
	s_waitcnt vmcnt(0)
	v_mov_b32_e32 v2, 0
	global_load_dwordx2 v[5:6], v2, s[6:7] offset:24 glc
	s_waitcnt vmcnt(0)
	buffer_wbinvl1_vol
	global_load_dwordx2 v[3:4], v2, s[6:7] offset:40
	global_load_dwordx2 v[7:8], v2, s[6:7]
	s_waitcnt vmcnt(1)
	v_and_b32_e32 v3, v3, v5
	v_and_b32_e32 v4, v4, v6
	v_mul_lo_u32 v4, v4, 24
	v_mul_hi_u32 v9, v3, 24
	v_mul_lo_u32 v3, v3, 24
	v_add_u32_e32 v4, v9, v4
	s_waitcnt vmcnt(0)
	v_add_co_u32_e32 v3, vcc, v7, v3
	v_addc_co_u32_e32 v4, vcc, v8, v4, vcc
	global_load_dwordx2 v[3:4], v[3:4], off glc
	s_waitcnt vmcnt(0)
	global_atomic_cmpswap_x2 v[8:9], v2, v[3:6], s[6:7] offset:24 glc
	s_waitcnt vmcnt(0)
	buffer_wbinvl1_vol
	v_cmp_ne_u64_e32 vcc, v[8:9], v[5:6]
	s_and_saveexec_b64 s[20:21], vcc
	s_cbranch_execz .LBB5_791
; %bb.788:
	s_mov_b64 s[22:23], 0
.LBB5_789:                              ; =>This Inner Loop Header: Depth=1
	s_sleep 1
	global_load_dwordx2 v[3:4], v2, s[6:7] offset:40
	global_load_dwordx2 v[10:11], v2, s[6:7]
	v_mov_b32_e32 v5, v8
	v_mov_b32_e32 v6, v9
	s_waitcnt vmcnt(1)
	v_and_b32_e32 v3, v3, v5
	s_waitcnt vmcnt(0)
	v_mad_u64_u32 v[7:8], s[24:25], v3, 24, v[10:11]
	v_and_b32_e32 v4, v4, v6
	v_mov_b32_e32 v3, v8
	v_mad_u64_u32 v[3:4], s[24:25], v4, 24, v[3:4]
	v_mov_b32_e32 v8, v3
	global_load_dwordx2 v[3:4], v[7:8], off glc
	s_waitcnt vmcnt(0)
	global_atomic_cmpswap_x2 v[8:9], v2, v[3:6], s[6:7] offset:24 glc
	s_waitcnt vmcnt(0)
	buffer_wbinvl1_vol
	v_cmp_eq_u64_e32 vcc, v[8:9], v[5:6]
	s_or_b64 s[22:23], vcc, s[22:23]
	s_andn2_b64 exec, exec, s[22:23]
	s_cbranch_execnz .LBB5_789
; %bb.790:
	s_or_b64 exec, exec, s[22:23]
.LBB5_791:
	s_or_b64 exec, exec, s[20:21]
.LBB5_792:
	s_or_b64 exec, exec, s[18:19]
	s_waitcnt vmcnt(0)
	v_mov_b32_e32 v2, 0
	global_load_dwordx2 v[10:11], v2, s[6:7] offset:40
	global_load_dwordx4 v[4:7], v2, s[6:7]
	v_readfirstlane_b32 s18, v8
	v_readfirstlane_b32 s19, v9
	s_mov_b64 s[20:21], exec
	s_waitcnt vmcnt(1)
	v_readfirstlane_b32 s22, v10
	v_readfirstlane_b32 s23, v11
	s_and_b64 s[22:23], s[18:19], s[22:23]
	s_mul_i32 s15, s23, 24
	s_mul_hi_u32 s24, s22, 24
	s_mul_i32 s25, s22, 24
	s_add_i32 s15, s24, s15
	v_mov_b32_e32 v3, s15
	s_waitcnt vmcnt(0)
	v_add_co_u32_e32 v8, vcc, s25, v4
	v_addc_co_u32_e32 v9, vcc, v5, v3, vcc
	s_and_saveexec_b64 s[24:25], s[4:5]
	s_cbranch_execz .LBB5_794
; %bb.793:
	v_mov_b32_e32 v10, s20
	v_mov_b32_e32 v11, s21
	;; [unrolled: 1-line block ×4, first 2 shown]
	global_store_dwordx4 v[8:9], v[10:13], off offset:8
.LBB5_794:
	s_or_b64 exec, exec, s[24:25]
	s_lshl_b64 s[20:21], s[22:23], 12
	v_mov_b32_e32 v3, s21
	v_add_co_u32_e32 v10, vcc, s20, v6
	v_addc_co_u32_e32 v11, vcc, v7, v3, vcc
	s_movk_i32 s15, 0xff1f
	v_and_or_b32 v0, v0, s15, 32
	s_mov_b32 s20, 0
	v_mov_b32_e32 v3, v2
	v_readfirstlane_b32 s24, v10
	v_readfirstlane_b32 s25, v11
	v_add_co_u32_e32 v6, vcc, v10, v31
	s_mov_b32 s21, s20
	s_mov_b32 s22, s20
	;; [unrolled: 1-line block ×3, first 2 shown]
	s_nop 0
	global_store_dwordx4 v31, v[0:3], s[24:25]
	v_addc_co_u32_e32 v7, vcc, 0, v11, vcc
	v_mov_b32_e32 v0, s20
	v_mov_b32_e32 v1, s21
	;; [unrolled: 1-line block ×4, first 2 shown]
	global_store_dwordx4 v31, v[0:3], s[24:25] offset:16
	global_store_dwordx4 v31, v[0:3], s[24:25] offset:32
	;; [unrolled: 1-line block ×3, first 2 shown]
	s_and_saveexec_b64 s[20:21], s[4:5]
	s_cbranch_execz .LBB5_802
; %bb.795:
	v_mov_b32_e32 v10, 0
	global_load_dwordx2 v[13:14], v10, s[6:7] offset:32 glc
	global_load_dwordx2 v[0:1], v10, s[6:7] offset:40
	v_mov_b32_e32 v11, s18
	v_mov_b32_e32 v12, s19
	s_waitcnt vmcnt(0)
	v_readfirstlane_b32 s22, v0
	v_readfirstlane_b32 s23, v1
	s_and_b64 s[22:23], s[22:23], s[18:19]
	s_mul_i32 s15, s23, 24
	s_mul_hi_u32 s23, s22, 24
	s_mul_i32 s22, s22, 24
	s_add_i32 s15, s23, s15
	v_mov_b32_e32 v0, s15
	v_add_co_u32_e32 v4, vcc, s22, v4
	v_addc_co_u32_e32 v5, vcc, v5, v0, vcc
	global_store_dwordx2 v[4:5], v[13:14], off
	s_waitcnt vmcnt(0)
	global_atomic_cmpswap_x2 v[2:3], v10, v[11:14], s[6:7] offset:32 glc
	s_waitcnt vmcnt(0)
	v_cmp_ne_u64_e32 vcc, v[2:3], v[13:14]
	s_and_saveexec_b64 s[22:23], vcc
	s_cbranch_execz .LBB5_798
; %bb.796:
	s_mov_b64 s[24:25], 0
.LBB5_797:                              ; =>This Inner Loop Header: Depth=1
	s_sleep 1
	global_store_dwordx2 v[4:5], v[2:3], off
	v_mov_b32_e32 v0, s18
	v_mov_b32_e32 v1, s19
	s_waitcnt vmcnt(0)
	global_atomic_cmpswap_x2 v[0:1], v10, v[0:3], s[6:7] offset:32 glc
	s_waitcnt vmcnt(0)
	v_cmp_eq_u64_e32 vcc, v[0:1], v[2:3]
	v_mov_b32_e32 v3, v1
	s_or_b64 s[24:25], vcc, s[24:25]
	v_mov_b32_e32 v2, v0
	s_andn2_b64 exec, exec, s[24:25]
	s_cbranch_execnz .LBB5_797
.LBB5_798:
	s_or_b64 exec, exec, s[22:23]
	v_mov_b32_e32 v3, 0
	global_load_dwordx2 v[0:1], v3, s[6:7] offset:16
	s_mov_b64 s[22:23], exec
	v_mbcnt_lo_u32_b32 v2, s22, 0
	v_mbcnt_hi_u32_b32 v2, s23, v2
	v_cmp_eq_u32_e32 vcc, 0, v2
	s_and_saveexec_b64 s[24:25], vcc
	s_cbranch_execz .LBB5_800
; %bb.799:
	s_bcnt1_i32_b64 s15, s[22:23]
	v_mov_b32_e32 v2, s15
	s_waitcnt vmcnt(0)
	global_atomic_add_x2 v[0:1], v[2:3], off offset:8
.LBB5_800:
	s_or_b64 exec, exec, s[24:25]
	s_waitcnt vmcnt(0)
	global_load_dwordx2 v[2:3], v[0:1], off offset:16
	s_waitcnt vmcnt(0)
	v_cmp_eq_u64_e32 vcc, 0, v[2:3]
	s_cbranch_vccnz .LBB5_802
; %bb.801:
	global_load_dword v0, v[0:1], off offset:24
	v_mov_b32_e32 v1, 0
	s_waitcnt vmcnt(0)
	global_store_dwordx2 v[2:3], v[0:1], off
	v_and_b32_e32 v0, 0xffffff, v0
	v_readfirstlane_b32 m0, v0
	s_sendmsg sendmsg(MSG_INTERRUPT)
.LBB5_802:
	s_or_b64 exec, exec, s[20:21]
	s_branch .LBB5_806
.LBB5_803:                              ;   in Loop: Header=BB5_806 Depth=1
	s_or_b64 exec, exec, s[20:21]
	v_readfirstlane_b32 s15, v0
	s_cmp_eq_u32 s15, 0
	s_cbranch_scc1 .LBB5_805
; %bb.804:                              ;   in Loop: Header=BB5_806 Depth=1
	s_sleep 1
	s_cbranch_execnz .LBB5_806
	s_branch .LBB5_808
.LBB5_805:
	s_branch .LBB5_808
.LBB5_806:                              ; =>This Inner Loop Header: Depth=1
	v_mov_b32_e32 v0, 1
	s_and_saveexec_b64 s[20:21], s[4:5]
	s_cbranch_execz .LBB5_803
; %bb.807:                              ;   in Loop: Header=BB5_806 Depth=1
	global_load_dword v0, v[8:9], off offset:20 glc
	s_waitcnt vmcnt(0)
	buffer_wbinvl1_vol
	v_and_b32_e32 v0, 1, v0
	s_branch .LBB5_803
.LBB5_808:
	global_load_dwordx2 v[2:3], v[6:7], off
	s_and_saveexec_b64 s[20:21], s[4:5]
	s_cbranch_execz .LBB5_811
; %bb.809:
	v_mov_b32_e32 v8, 0
	global_load_dwordx2 v[0:1], v8, s[6:7] offset:40
	global_load_dwordx2 v[9:10], v8, s[6:7] offset:24 glc
	global_load_dwordx2 v[11:12], v8, s[6:7]
	v_mov_b32_e32 v5, s19
	s_mov_b64 s[4:5], 0
	s_waitcnt vmcnt(2)
	v_add_co_u32_e32 v6, vcc, 1, v0
	v_addc_co_u32_e32 v7, vcc, 0, v1, vcc
	v_add_co_u32_e32 v4, vcc, s18, v6
	v_addc_co_u32_e32 v5, vcc, v7, v5, vcc
	v_cmp_eq_u64_e32 vcc, 0, v[4:5]
	v_cndmask_b32_e32 v5, v5, v7, vcc
	v_cndmask_b32_e32 v4, v4, v6, vcc
	v_and_b32_e32 v1, v5, v1
	v_and_b32_e32 v0, v4, v0
	v_mul_lo_u32 v1, v1, 24
	v_mul_hi_u32 v7, v0, 24
	v_mul_lo_u32 v0, v0, 24
	s_waitcnt vmcnt(1)
	v_mov_b32_e32 v6, v9
	v_add_u32_e32 v1, v7, v1
	s_waitcnt vmcnt(0)
	v_add_co_u32_e32 v0, vcc, v11, v0
	v_addc_co_u32_e32 v1, vcc, v12, v1, vcc
	global_store_dwordx2 v[0:1], v[9:10], off
	v_mov_b32_e32 v7, v10
	s_waitcnt vmcnt(0)
	global_atomic_cmpswap_x2 v[6:7], v8, v[4:7], s[6:7] offset:24 glc
	s_waitcnt vmcnt(0)
	v_cmp_ne_u64_e32 vcc, v[6:7], v[9:10]
	s_and_b64 exec, exec, vcc
	s_cbranch_execz .LBB5_811
.LBB5_810:                              ; =>This Inner Loop Header: Depth=1
	s_sleep 1
	global_store_dwordx2 v[0:1], v[6:7], off
	s_waitcnt vmcnt(0)
	global_atomic_cmpswap_x2 v[9:10], v8, v[4:7], s[6:7] offset:24 glc
	s_waitcnt vmcnt(0)
	v_cmp_eq_u64_e32 vcc, v[9:10], v[6:7]
	v_mov_b32_e32 v6, v9
	s_or_b64 s[4:5], vcc, s[4:5]
	v_mov_b32_e32 v7, v10
	s_andn2_b64 exec, exec, s[4:5]
	s_cbranch_execnz .LBB5_810
.LBB5_811:
	s_or_b64 exec, exec, s[20:21]
.LBB5_812:
	v_readfirstlane_b32 s4, v32
	s_waitcnt vmcnt(0)
	v_mov_b32_e32 v0, 0
	v_mov_b32_e32 v1, 0
	v_cmp_eq_u32_e64 s[4:5], s4, v32
	s_and_saveexec_b64 s[18:19], s[4:5]
	s_cbranch_execz .LBB5_818
; %bb.813:
	v_mov_b32_e32 v4, 0
	global_load_dwordx2 v[7:8], v4, s[6:7] offset:24 glc
	s_waitcnt vmcnt(0)
	buffer_wbinvl1_vol
	global_load_dwordx2 v[0:1], v4, s[6:7] offset:40
	global_load_dwordx2 v[5:6], v4, s[6:7]
	s_waitcnt vmcnt(1)
	v_and_b32_e32 v0, v0, v7
	v_and_b32_e32 v1, v1, v8
	v_mul_lo_u32 v1, v1, 24
	v_mul_hi_u32 v9, v0, 24
	v_mul_lo_u32 v0, v0, 24
	v_add_u32_e32 v1, v9, v1
	s_waitcnt vmcnt(0)
	v_add_co_u32_e32 v0, vcc, v5, v0
	v_addc_co_u32_e32 v1, vcc, v6, v1, vcc
	global_load_dwordx2 v[5:6], v[0:1], off glc
	s_waitcnt vmcnt(0)
	global_atomic_cmpswap_x2 v[0:1], v4, v[5:8], s[6:7] offset:24 glc
	s_waitcnt vmcnt(0)
	buffer_wbinvl1_vol
	v_cmp_ne_u64_e32 vcc, v[0:1], v[7:8]
	s_and_saveexec_b64 s[20:21], vcc
	s_cbranch_execz .LBB5_817
; %bb.814:
	s_mov_b64 s[22:23], 0
.LBB5_815:                              ; =>This Inner Loop Header: Depth=1
	s_sleep 1
	global_load_dwordx2 v[5:6], v4, s[6:7] offset:40
	global_load_dwordx2 v[9:10], v4, s[6:7]
	v_mov_b32_e32 v8, v1
	v_mov_b32_e32 v7, v0
	s_waitcnt vmcnt(1)
	v_and_b32_e32 v0, v5, v7
	s_waitcnt vmcnt(0)
	v_mad_u64_u32 v[0:1], s[24:25], v0, 24, v[9:10]
	v_and_b32_e32 v5, v6, v8
	v_mad_u64_u32 v[5:6], s[24:25], v5, 24, v[1:2]
	v_mov_b32_e32 v1, v5
	global_load_dwordx2 v[5:6], v[0:1], off glc
	s_waitcnt vmcnt(0)
	global_atomic_cmpswap_x2 v[0:1], v4, v[5:8], s[6:7] offset:24 glc
	s_waitcnt vmcnt(0)
	buffer_wbinvl1_vol
	v_cmp_eq_u64_e32 vcc, v[0:1], v[7:8]
	s_or_b64 s[22:23], vcc, s[22:23]
	s_andn2_b64 exec, exec, s[22:23]
	s_cbranch_execnz .LBB5_815
; %bb.816:
	s_or_b64 exec, exec, s[22:23]
.LBB5_817:
	s_or_b64 exec, exec, s[20:21]
.LBB5_818:
	s_or_b64 exec, exec, s[18:19]
	v_mov_b32_e32 v5, 0
	global_load_dwordx2 v[10:11], v5, s[6:7] offset:40
	global_load_dwordx4 v[6:9], v5, s[6:7]
	v_readfirstlane_b32 s18, v0
	v_readfirstlane_b32 s19, v1
	s_mov_b64 s[20:21], exec
	s_waitcnt vmcnt(1)
	v_readfirstlane_b32 s22, v10
	v_readfirstlane_b32 s23, v11
	s_and_b64 s[22:23], s[18:19], s[22:23]
	s_mul_i32 s15, s23, 24
	s_mul_hi_u32 s24, s22, 24
	s_mul_i32 s25, s22, 24
	s_add_i32 s15, s24, s15
	v_mov_b32_e32 v0, s15
	s_waitcnt vmcnt(0)
	v_add_co_u32_e32 v10, vcc, s25, v6
	v_addc_co_u32_e32 v11, vcc, v7, v0, vcc
	s_and_saveexec_b64 s[24:25], s[4:5]
	s_cbranch_execz .LBB5_820
; %bb.819:
	v_mov_b32_e32 v12, s20
	v_mov_b32_e32 v13, s21
	v_mov_b32_e32 v14, 2
	v_mov_b32_e32 v15, 1
	global_store_dwordx4 v[10:11], v[12:15], off offset:8
.LBB5_820:
	s_or_b64 exec, exec, s[24:25]
	s_lshl_b64 s[20:21], s[22:23], 12
	v_mov_b32_e32 v0, s21
	v_add_co_u32_e32 v1, vcc, s20, v8
	v_addc_co_u32_e32 v0, vcc, v9, v0, vcc
	s_movk_i32 s15, 0xff1d
	v_and_or_b32 v2, v2, s15, 34
	s_mov_b32 s20, 0
	v_mov_b32_e32 v4, 58
	v_readfirstlane_b32 s24, v1
	v_readfirstlane_b32 s25, v0
	s_mov_b32 s21, s20
	s_mov_b32 s22, s20
	;; [unrolled: 1-line block ×3, first 2 shown]
	s_nop 1
	global_store_dwordx4 v31, v[2:5], s[24:25]
	v_mov_b32_e32 v0, s20
	v_mov_b32_e32 v1, s21
	v_mov_b32_e32 v2, s22
	v_mov_b32_e32 v3, s23
	global_store_dwordx4 v31, v[0:3], s[24:25] offset:16
	global_store_dwordx4 v31, v[0:3], s[24:25] offset:32
	;; [unrolled: 1-line block ×3, first 2 shown]
	s_and_saveexec_b64 s[20:21], s[4:5]
	s_cbranch_execz .LBB5_828
; %bb.821:
	v_mov_b32_e32 v8, 0
	global_load_dwordx2 v[14:15], v8, s[6:7] offset:32 glc
	global_load_dwordx2 v[0:1], v8, s[6:7] offset:40
	v_mov_b32_e32 v12, s18
	v_mov_b32_e32 v13, s19
	s_waitcnt vmcnt(0)
	v_readfirstlane_b32 s22, v0
	v_readfirstlane_b32 s23, v1
	s_and_b64 s[22:23], s[22:23], s[18:19]
	s_mul_i32 s15, s23, 24
	s_mul_hi_u32 s23, s22, 24
	s_mul_i32 s22, s22, 24
	s_add_i32 s15, s23, s15
	v_mov_b32_e32 v0, s15
	v_add_co_u32_e32 v4, vcc, s22, v6
	v_addc_co_u32_e32 v5, vcc, v7, v0, vcc
	global_store_dwordx2 v[4:5], v[14:15], off
	s_waitcnt vmcnt(0)
	global_atomic_cmpswap_x2 v[2:3], v8, v[12:15], s[6:7] offset:32 glc
	s_waitcnt vmcnt(0)
	v_cmp_ne_u64_e32 vcc, v[2:3], v[14:15]
	s_and_saveexec_b64 s[22:23], vcc
	s_cbranch_execz .LBB5_824
; %bb.822:
	s_mov_b64 s[24:25], 0
.LBB5_823:                              ; =>This Inner Loop Header: Depth=1
	s_sleep 1
	global_store_dwordx2 v[4:5], v[2:3], off
	v_mov_b32_e32 v0, s18
	v_mov_b32_e32 v1, s19
	s_waitcnt vmcnt(0)
	global_atomic_cmpswap_x2 v[0:1], v8, v[0:3], s[6:7] offset:32 glc
	s_waitcnt vmcnt(0)
	v_cmp_eq_u64_e32 vcc, v[0:1], v[2:3]
	v_mov_b32_e32 v3, v1
	s_or_b64 s[24:25], vcc, s[24:25]
	v_mov_b32_e32 v2, v0
	s_andn2_b64 exec, exec, s[24:25]
	s_cbranch_execnz .LBB5_823
.LBB5_824:
	s_or_b64 exec, exec, s[22:23]
	v_mov_b32_e32 v3, 0
	global_load_dwordx2 v[0:1], v3, s[6:7] offset:16
	s_mov_b64 s[22:23], exec
	v_mbcnt_lo_u32_b32 v2, s22, 0
	v_mbcnt_hi_u32_b32 v2, s23, v2
	v_cmp_eq_u32_e32 vcc, 0, v2
	s_and_saveexec_b64 s[24:25], vcc
	s_cbranch_execz .LBB5_826
; %bb.825:
	s_bcnt1_i32_b64 s15, s[22:23]
	v_mov_b32_e32 v2, s15
	s_waitcnt vmcnt(0)
	global_atomic_add_x2 v[0:1], v[2:3], off offset:8
.LBB5_826:
	s_or_b64 exec, exec, s[24:25]
	s_waitcnt vmcnt(0)
	global_load_dwordx2 v[2:3], v[0:1], off offset:16
	s_waitcnt vmcnt(0)
	v_cmp_eq_u64_e32 vcc, 0, v[2:3]
	s_cbranch_vccnz .LBB5_828
; %bb.827:
	global_load_dword v0, v[0:1], off offset:24
	v_mov_b32_e32 v1, 0
	s_waitcnt vmcnt(0)
	global_store_dwordx2 v[2:3], v[0:1], off
	v_and_b32_e32 v0, 0xffffff, v0
	v_readfirstlane_b32 m0, v0
	s_sendmsg sendmsg(MSG_INTERRUPT)
.LBB5_828:
	s_or_b64 exec, exec, s[20:21]
	s_branch .LBB5_832
.LBB5_829:                              ;   in Loop: Header=BB5_832 Depth=1
	s_or_b64 exec, exec, s[20:21]
	v_readfirstlane_b32 s15, v0
	s_cmp_eq_u32 s15, 0
	s_cbranch_scc1 .LBB5_831
; %bb.830:                              ;   in Loop: Header=BB5_832 Depth=1
	s_sleep 1
	s_cbranch_execnz .LBB5_832
	s_branch .LBB5_834
.LBB5_831:
	s_branch .LBB5_834
.LBB5_832:                              ; =>This Inner Loop Header: Depth=1
	v_mov_b32_e32 v0, 1
	s_and_saveexec_b64 s[20:21], s[4:5]
	s_cbranch_execz .LBB5_829
; %bb.833:                              ;   in Loop: Header=BB5_832 Depth=1
	global_load_dword v0, v[10:11], off offset:20 glc
	s_waitcnt vmcnt(0)
	buffer_wbinvl1_vol
	v_and_b32_e32 v0, 1, v0
	s_branch .LBB5_829
.LBB5_834:
	s_and_saveexec_b64 s[20:21], s[4:5]
	s_cbranch_execz .LBB5_837
; %bb.835:
	v_mov_b32_e32 v6, 0
	global_load_dwordx2 v[2:3], v6, s[6:7] offset:40
	global_load_dwordx2 v[7:8], v6, s[6:7] offset:24 glc
	global_load_dwordx2 v[4:5], v6, s[6:7]
	v_mov_b32_e32 v1, s19
	s_mov_b64 s[4:5], 0
	s_waitcnt vmcnt(2)
	v_add_co_u32_e32 v9, vcc, 1, v2
	v_addc_co_u32_e32 v10, vcc, 0, v3, vcc
	v_add_co_u32_e32 v0, vcc, s18, v9
	v_addc_co_u32_e32 v1, vcc, v10, v1, vcc
	v_cmp_eq_u64_e32 vcc, 0, v[0:1]
	v_cndmask_b32_e32 v1, v1, v10, vcc
	v_cndmask_b32_e32 v0, v0, v9, vcc
	v_and_b32_e32 v3, v1, v3
	v_and_b32_e32 v2, v0, v2
	v_mul_lo_u32 v3, v3, 24
	v_mul_hi_u32 v9, v2, 24
	v_mul_lo_u32 v10, v2, 24
	s_waitcnt vmcnt(1)
	v_mov_b32_e32 v2, v7
	v_add_u32_e32 v3, v9, v3
	s_waitcnt vmcnt(0)
	v_add_co_u32_e32 v4, vcc, v4, v10
	v_addc_co_u32_e32 v5, vcc, v5, v3, vcc
	global_store_dwordx2 v[4:5], v[7:8], off
	v_mov_b32_e32 v3, v8
	s_waitcnt vmcnt(0)
	global_atomic_cmpswap_x2 v[2:3], v6, v[0:3], s[6:7] offset:24 glc
	s_waitcnt vmcnt(0)
	v_cmp_ne_u64_e32 vcc, v[2:3], v[7:8]
	s_and_b64 exec, exec, vcc
	s_cbranch_execz .LBB5_837
.LBB5_836:                              ; =>This Inner Loop Header: Depth=1
	s_sleep 1
	global_store_dwordx2 v[4:5], v[2:3], off
	s_waitcnt vmcnt(0)
	global_atomic_cmpswap_x2 v[7:8], v6, v[0:3], s[6:7] offset:24 glc
	s_waitcnt vmcnt(0)
	v_cmp_eq_u64_e32 vcc, v[7:8], v[2:3]
	v_mov_b32_e32 v2, v7
	s_or_b64 s[4:5], vcc, s[4:5]
	v_mov_b32_e32 v3, v8
	s_andn2_b64 exec, exec, s[4:5]
	s_cbranch_execnz .LBB5_836
.LBB5_837:
	s_or_b64 exec, exec, s[20:21]
	v_readfirstlane_b32 s4, v32
	v_mov_b32_e32 v5, 0
	v_mov_b32_e32 v6, 0
	v_cmp_eq_u32_e64 s[4:5], s4, v32
	s_and_saveexec_b64 s[18:19], s[4:5]
	s_cbranch_execz .LBB5_843
; %bb.838:
	v_mov_b32_e32 v0, 0
	global_load_dwordx2 v[3:4], v0, s[6:7] offset:24 glc
	s_waitcnt vmcnt(0)
	buffer_wbinvl1_vol
	global_load_dwordx2 v[1:2], v0, s[6:7] offset:40
	global_load_dwordx2 v[5:6], v0, s[6:7]
	s_waitcnt vmcnt(1)
	v_and_b32_e32 v1, v1, v3
	v_and_b32_e32 v2, v2, v4
	v_mul_lo_u32 v2, v2, 24
	v_mul_hi_u32 v7, v1, 24
	v_mul_lo_u32 v1, v1, 24
	v_add_u32_e32 v2, v7, v2
	s_waitcnt vmcnt(0)
	v_add_co_u32_e32 v1, vcc, v5, v1
	v_addc_co_u32_e32 v2, vcc, v6, v2, vcc
	global_load_dwordx2 v[1:2], v[1:2], off glc
	s_waitcnt vmcnt(0)
	global_atomic_cmpswap_x2 v[5:6], v0, v[1:4], s[6:7] offset:24 glc
	s_waitcnt vmcnt(0)
	buffer_wbinvl1_vol
	v_cmp_ne_u64_e32 vcc, v[5:6], v[3:4]
	s_and_saveexec_b64 s[20:21], vcc
	s_cbranch_execz .LBB5_842
; %bb.839:
	s_mov_b64 s[22:23], 0
.LBB5_840:                              ; =>This Inner Loop Header: Depth=1
	s_sleep 1
	global_load_dwordx2 v[1:2], v0, s[6:7] offset:40
	global_load_dwordx2 v[7:8], v0, s[6:7]
	v_mov_b32_e32 v3, v5
	v_mov_b32_e32 v4, v6
	s_waitcnt vmcnt(1)
	v_and_b32_e32 v1, v1, v3
	s_waitcnt vmcnt(0)
	v_mad_u64_u32 v[5:6], s[24:25], v1, 24, v[7:8]
	v_and_b32_e32 v2, v2, v4
	v_mov_b32_e32 v1, v6
	v_mad_u64_u32 v[1:2], s[24:25], v2, 24, v[1:2]
	v_mov_b32_e32 v6, v1
	global_load_dwordx2 v[1:2], v[5:6], off glc
	s_waitcnt vmcnt(0)
	global_atomic_cmpswap_x2 v[5:6], v0, v[1:4], s[6:7] offset:24 glc
	s_waitcnt vmcnt(0)
	buffer_wbinvl1_vol
	v_cmp_eq_u64_e32 vcc, v[5:6], v[3:4]
	s_or_b64 s[22:23], vcc, s[22:23]
	s_andn2_b64 exec, exec, s[22:23]
	s_cbranch_execnz .LBB5_840
; %bb.841:
	s_or_b64 exec, exec, s[22:23]
.LBB5_842:
	s_or_b64 exec, exec, s[20:21]
.LBB5_843:
	s_or_b64 exec, exec, s[18:19]
	v_mov_b32_e32 v4, 0
	global_load_dwordx2 v[7:8], v4, s[6:7] offset:40
	global_load_dwordx4 v[0:3], v4, s[6:7]
	v_readfirstlane_b32 s18, v5
	v_readfirstlane_b32 s19, v6
	s_mov_b64 s[20:21], exec
	s_waitcnt vmcnt(1)
	v_readfirstlane_b32 s22, v7
	v_readfirstlane_b32 s23, v8
	s_and_b64 s[22:23], s[18:19], s[22:23]
	s_mul_i32 s15, s23, 24
	s_mul_hi_u32 s24, s22, 24
	s_mul_i32 s25, s22, 24
	s_add_i32 s15, s24, s15
	v_mov_b32_e32 v5, s15
	s_waitcnt vmcnt(0)
	v_add_co_u32_e32 v7, vcc, s25, v0
	v_addc_co_u32_e32 v8, vcc, v1, v5, vcc
	s_and_saveexec_b64 s[24:25], s[4:5]
	s_cbranch_execz .LBB5_845
; %bb.844:
	v_mov_b32_e32 v9, s20
	v_mov_b32_e32 v10, s21
	;; [unrolled: 1-line block ×4, first 2 shown]
	global_store_dwordx4 v[7:8], v[9:12], off offset:8
.LBB5_845:
	s_or_b64 exec, exec, s[24:25]
	s_lshl_b64 s[20:21], s[22:23], 12
	v_mov_b32_e32 v5, s21
	v_add_co_u32_e32 v2, vcc, s20, v2
	v_addc_co_u32_e32 v11, vcc, v3, v5, vcc
	s_mov_b32 s20, 0
	v_mov_b32_e32 v3, 33
	v_mov_b32_e32 v5, v4
	;; [unrolled: 1-line block ×3, first 2 shown]
	v_readfirstlane_b32 s24, v2
	v_readfirstlane_b32 s25, v11
	v_add_co_u32_e32 v9, vcc, v2, v31
	s_mov_b32 s21, s20
	s_mov_b32 s22, s20
	;; [unrolled: 1-line block ×3, first 2 shown]
	s_nop 0
	global_store_dwordx4 v31, v[3:6], s[24:25]
	v_mov_b32_e32 v2, s20
	v_addc_co_u32_e32 v10, vcc, 0, v11, vcc
	v_mov_b32_e32 v3, s21
	v_mov_b32_e32 v4, s22
	;; [unrolled: 1-line block ×3, first 2 shown]
	global_store_dwordx4 v31, v[2:5], s[24:25] offset:16
	global_store_dwordx4 v31, v[2:5], s[24:25] offset:32
	;; [unrolled: 1-line block ×3, first 2 shown]
	s_and_saveexec_b64 s[20:21], s[4:5]
	s_cbranch_execz .LBB5_853
; %bb.846:
	v_mov_b32_e32 v6, 0
	global_load_dwordx2 v[13:14], v6, s[6:7] offset:32 glc
	global_load_dwordx2 v[2:3], v6, s[6:7] offset:40
	v_mov_b32_e32 v11, s18
	v_mov_b32_e32 v12, s19
	s_waitcnt vmcnt(0)
	v_readfirstlane_b32 s22, v2
	v_readfirstlane_b32 s23, v3
	s_and_b64 s[22:23], s[22:23], s[18:19]
	s_mul_i32 s15, s23, 24
	s_mul_hi_u32 s23, s22, 24
	s_mul_i32 s22, s22, 24
	s_add_i32 s15, s23, s15
	v_mov_b32_e32 v2, s15
	v_add_co_u32_e32 v4, vcc, s22, v0
	v_addc_co_u32_e32 v5, vcc, v1, v2, vcc
	global_store_dwordx2 v[4:5], v[13:14], off
	s_waitcnt vmcnt(0)
	global_atomic_cmpswap_x2 v[2:3], v6, v[11:14], s[6:7] offset:32 glc
	s_waitcnt vmcnt(0)
	v_cmp_ne_u64_e32 vcc, v[2:3], v[13:14]
	s_and_saveexec_b64 s[22:23], vcc
	s_cbranch_execz .LBB5_849
; %bb.847:
	s_mov_b64 s[24:25], 0
.LBB5_848:                              ; =>This Inner Loop Header: Depth=1
	s_sleep 1
	global_store_dwordx2 v[4:5], v[2:3], off
	v_mov_b32_e32 v0, s18
	v_mov_b32_e32 v1, s19
	s_waitcnt vmcnt(0)
	global_atomic_cmpswap_x2 v[0:1], v6, v[0:3], s[6:7] offset:32 glc
	s_waitcnt vmcnt(0)
	v_cmp_eq_u64_e32 vcc, v[0:1], v[2:3]
	v_mov_b32_e32 v3, v1
	s_or_b64 s[24:25], vcc, s[24:25]
	v_mov_b32_e32 v2, v0
	s_andn2_b64 exec, exec, s[24:25]
	s_cbranch_execnz .LBB5_848
.LBB5_849:
	s_or_b64 exec, exec, s[22:23]
	v_mov_b32_e32 v3, 0
	global_load_dwordx2 v[0:1], v3, s[6:7] offset:16
	s_mov_b64 s[22:23], exec
	v_mbcnt_lo_u32_b32 v2, s22, 0
	v_mbcnt_hi_u32_b32 v2, s23, v2
	v_cmp_eq_u32_e32 vcc, 0, v2
	s_and_saveexec_b64 s[24:25], vcc
	s_cbranch_execz .LBB5_851
; %bb.850:
	s_bcnt1_i32_b64 s15, s[22:23]
	v_mov_b32_e32 v2, s15
	s_waitcnt vmcnt(0)
	global_atomic_add_x2 v[0:1], v[2:3], off offset:8
.LBB5_851:
	s_or_b64 exec, exec, s[24:25]
	s_waitcnt vmcnt(0)
	global_load_dwordx2 v[2:3], v[0:1], off offset:16
	s_waitcnt vmcnt(0)
	v_cmp_eq_u64_e32 vcc, 0, v[2:3]
	s_cbranch_vccnz .LBB5_853
; %bb.852:
	global_load_dword v0, v[0:1], off offset:24
	v_mov_b32_e32 v1, 0
	s_waitcnt vmcnt(0)
	global_store_dwordx2 v[2:3], v[0:1], off
	v_and_b32_e32 v0, 0xffffff, v0
	v_readfirstlane_b32 m0, v0
	s_sendmsg sendmsg(MSG_INTERRUPT)
.LBB5_853:
	s_or_b64 exec, exec, s[20:21]
	s_branch .LBB5_857
.LBB5_854:                              ;   in Loop: Header=BB5_857 Depth=1
	s_or_b64 exec, exec, s[20:21]
	v_readfirstlane_b32 s15, v0
	s_cmp_eq_u32 s15, 0
	s_cbranch_scc1 .LBB5_856
; %bb.855:                              ;   in Loop: Header=BB5_857 Depth=1
	s_sleep 1
	s_cbranch_execnz .LBB5_857
	s_branch .LBB5_859
.LBB5_856:
	s_branch .LBB5_859
.LBB5_857:                              ; =>This Inner Loop Header: Depth=1
	v_mov_b32_e32 v0, 1
	s_and_saveexec_b64 s[20:21], s[4:5]
	s_cbranch_execz .LBB5_854
; %bb.858:                              ;   in Loop: Header=BB5_857 Depth=1
	global_load_dword v0, v[7:8], off offset:20 glc
	s_waitcnt vmcnt(0)
	buffer_wbinvl1_vol
	v_and_b32_e32 v0, 1, v0
	s_branch .LBB5_854
.LBB5_859:
	global_load_dwordx2 v[0:1], v[9:10], off
	s_and_saveexec_b64 s[20:21], s[4:5]
	s_cbranch_execz .LBB5_862
; %bb.860:
	v_mov_b32_e32 v8, 0
	global_load_dwordx2 v[4:5], v8, s[6:7] offset:40
	global_load_dwordx2 v[9:10], v8, s[6:7] offset:24 glc
	global_load_dwordx2 v[6:7], v8, s[6:7]
	v_mov_b32_e32 v3, s19
	s_mov_b64 s[4:5], 0
	s_waitcnt vmcnt(2)
	v_add_co_u32_e32 v11, vcc, 1, v4
	v_addc_co_u32_e32 v12, vcc, 0, v5, vcc
	v_add_co_u32_e32 v2, vcc, s18, v11
	v_addc_co_u32_e32 v3, vcc, v12, v3, vcc
	v_cmp_eq_u64_e32 vcc, 0, v[2:3]
	v_cndmask_b32_e32 v3, v3, v12, vcc
	v_cndmask_b32_e32 v2, v2, v11, vcc
	v_and_b32_e32 v5, v3, v5
	v_and_b32_e32 v4, v2, v4
	v_mul_lo_u32 v5, v5, 24
	v_mul_hi_u32 v11, v4, 24
	v_mul_lo_u32 v12, v4, 24
	s_waitcnt vmcnt(1)
	v_mov_b32_e32 v4, v9
	v_add_u32_e32 v5, v11, v5
	s_waitcnt vmcnt(0)
	v_add_co_u32_e32 v6, vcc, v6, v12
	v_addc_co_u32_e32 v7, vcc, v7, v5, vcc
	global_store_dwordx2 v[6:7], v[9:10], off
	v_mov_b32_e32 v5, v10
	s_waitcnt vmcnt(0)
	global_atomic_cmpswap_x2 v[4:5], v8, v[2:5], s[6:7] offset:24 glc
	s_waitcnt vmcnt(0)
	v_cmp_ne_u64_e32 vcc, v[4:5], v[9:10]
	s_and_b64 exec, exec, vcc
	s_cbranch_execz .LBB5_862
.LBB5_861:                              ; =>This Inner Loop Header: Depth=1
	s_sleep 1
	global_store_dwordx2 v[6:7], v[4:5], off
	s_waitcnt vmcnt(0)
	global_atomic_cmpswap_x2 v[9:10], v8, v[2:5], s[6:7] offset:24 glc
	s_waitcnt vmcnt(0)
	v_cmp_eq_u64_e32 vcc, v[9:10], v[4:5]
	v_mov_b32_e32 v4, v9
	s_or_b64 s[4:5], vcc, s[4:5]
	v_mov_b32_e32 v5, v10
	s_andn2_b64 exec, exec, s[4:5]
	s_cbranch_execnz .LBB5_861
.LBB5_862:
	s_or_b64 exec, exec, s[20:21]
	s_getpc_b64 s[18:19]
	s_add_u32 s18, s18, .str.7@rel32@lo+4
	s_addc_u32 s19, s19, .str.7@rel32@hi+12
	s_cmp_lg_u64 s[18:19], 0
	s_cbranch_scc0 .LBB5_947
; %bb.863:
	s_waitcnt vmcnt(0)
	v_and_b32_e32 v33, 2, v0
	v_mov_b32_e32 v28, 0
	v_and_b32_e32 v2, -3, v0
	v_mov_b32_e32 v3, v1
	s_mov_b64 s[20:21], 4
	v_mov_b32_e32 v6, 2
	v_mov_b32_e32 v7, 1
	s_branch .LBB5_865
.LBB5_864:                              ;   in Loop: Header=BB5_865 Depth=1
	s_or_b64 exec, exec, s[26:27]
	s_sub_u32 s20, s20, s22
	s_subb_u32 s21, s21, s23
	s_add_u32 s18, s18, s22
	s_addc_u32 s19, s19, s23
	s_cmp_lg_u64 s[20:21], 0
	s_cbranch_scc0 .LBB5_946
.LBB5_865:                              ; =>This Loop Header: Depth=1
                                        ;     Child Loop BB5_868 Depth 2
                                        ;     Child Loop BB5_875 Depth 2
	;; [unrolled: 1-line block ×11, first 2 shown]
	v_cmp_lt_u64_e64 s[4:5], s[20:21], 56
	v_cmp_gt_u64_e64 s[24:25], s[20:21], 7
	s_and_b64 s[4:5], s[4:5], exec
	s_cselect_b32 s23, s21, 0
	s_cselect_b32 s22, s20, 56
	s_and_b64 vcc, exec, s[24:25]
	s_cbranch_vccnz .LBB5_870
; %bb.866:                              ;   in Loop: Header=BB5_865 Depth=1
	v_mov_b32_e32 v10, 0
	s_cmp_eq_u64 s[20:21], 0
	v_mov_b32_e32 v11, 0
	s_mov_b64 s[4:5], 0
	s_cbranch_scc1 .LBB5_869
; %bb.867:                              ;   in Loop: Header=BB5_865 Depth=1
	v_mov_b32_e32 v10, 0
	s_lshl_b64 s[24:25], s[22:23], 3
	s_mov_b64 s[26:27], 0
	v_mov_b32_e32 v11, 0
	s_mov_b64 s[28:29], s[18:19]
.LBB5_868:                              ;   Parent Loop BB5_865 Depth=1
                                        ; =>  This Inner Loop Header: Depth=2
	global_load_ubyte v4, v28, s[28:29]
	s_waitcnt vmcnt(0)
	v_and_b32_e32 v27, 0xffff, v4
	v_lshlrev_b64 v[4:5], s26, v[27:28]
	s_add_u32 s26, s26, 8
	s_addc_u32 s27, s27, 0
	s_add_u32 s28, s28, 1
	s_addc_u32 s29, s29, 0
	v_or_b32_e32 v10, v4, v10
	s_cmp_lg_u32 s24, s26
	v_or_b32_e32 v11, v5, v11
	s_cbranch_scc1 .LBB5_868
.LBB5_869:                              ;   in Loop: Header=BB5_865 Depth=1
	s_mov_b32 s15, 0
	s_andn2_b64 vcc, exec, s[4:5]
	s_mov_b64 s[4:5], s[18:19]
	s_cbranch_vccz .LBB5_871
	s_branch .LBB5_872
.LBB5_870:                              ;   in Loop: Header=BB5_865 Depth=1
                                        ; implicit-def: $vgpr10_vgpr11
                                        ; implicit-def: $sgpr15
	s_mov_b64 s[4:5], s[18:19]
.LBB5_871:                              ;   in Loop: Header=BB5_865 Depth=1
	global_load_dwordx2 v[10:11], v28, s[18:19]
	s_add_i32 s15, s22, -8
	s_add_u32 s4, s18, 8
	s_addc_u32 s5, s19, 0
.LBB5_872:                              ;   in Loop: Header=BB5_865 Depth=1
	s_cmp_gt_u32 s15, 7
	s_cbranch_scc1 .LBB5_876
; %bb.873:                              ;   in Loop: Header=BB5_865 Depth=1
	s_cmp_eq_u32 s15, 0
	s_cbranch_scc1 .LBB5_877
; %bb.874:                              ;   in Loop: Header=BB5_865 Depth=1
	v_mov_b32_e32 v12, 0
	s_mov_b64 s[24:25], 0
	v_mov_b32_e32 v13, 0
	s_mov_b64 s[26:27], 0
.LBB5_875:                              ;   Parent Loop BB5_865 Depth=1
                                        ; =>  This Inner Loop Header: Depth=2
	s_add_u32 s28, s4, s26
	s_addc_u32 s29, s5, s27
	global_load_ubyte v4, v28, s[28:29]
	s_add_u32 s26, s26, 1
	s_addc_u32 s27, s27, 0
	s_waitcnt vmcnt(0)
	v_and_b32_e32 v27, 0xffff, v4
	v_lshlrev_b64 v[4:5], s24, v[27:28]
	s_add_u32 s24, s24, 8
	s_addc_u32 s25, s25, 0
	v_or_b32_e32 v12, v4, v12
	s_cmp_lg_u32 s15, s26
	v_or_b32_e32 v13, v5, v13
	s_cbranch_scc1 .LBB5_875
	s_branch .LBB5_878
.LBB5_876:                              ;   in Loop: Header=BB5_865 Depth=1
                                        ; implicit-def: $vgpr12_vgpr13
                                        ; implicit-def: $sgpr28
	s_branch .LBB5_879
.LBB5_877:                              ;   in Loop: Header=BB5_865 Depth=1
	v_mov_b32_e32 v12, 0
	v_mov_b32_e32 v13, 0
.LBB5_878:                              ;   in Loop: Header=BB5_865 Depth=1
	s_mov_b32 s28, 0
	s_cbranch_execnz .LBB5_880
.LBB5_879:                              ;   in Loop: Header=BB5_865 Depth=1
	global_load_dwordx2 v[12:13], v28, s[4:5]
	s_add_i32 s28, s15, -8
	s_add_u32 s4, s4, 8
	s_addc_u32 s5, s5, 0
.LBB5_880:                              ;   in Loop: Header=BB5_865 Depth=1
	s_cmp_gt_u32 s28, 7
	s_cbranch_scc1 .LBB5_884
; %bb.881:                              ;   in Loop: Header=BB5_865 Depth=1
	s_cmp_eq_u32 s28, 0
	s_cbranch_scc1 .LBB5_885
; %bb.882:                              ;   in Loop: Header=BB5_865 Depth=1
	v_mov_b32_e32 v14, 0
	s_mov_b64 s[24:25], 0
	v_mov_b32_e32 v15, 0
	s_mov_b64 s[26:27], 0
.LBB5_883:                              ;   Parent Loop BB5_865 Depth=1
                                        ; =>  This Inner Loop Header: Depth=2
	s_add_u32 vcc_lo, s4, s26
	s_addc_u32 vcc_hi, s5, s27
	global_load_ubyte v4, v28, vcc
	s_add_u32 s26, s26, 1
	s_addc_u32 s27, s27, 0
	s_waitcnt vmcnt(0)
	v_and_b32_e32 v27, 0xffff, v4
	v_lshlrev_b64 v[4:5], s24, v[27:28]
	s_add_u32 s24, s24, 8
	s_addc_u32 s25, s25, 0
	v_or_b32_e32 v14, v4, v14
	s_cmp_lg_u32 s28, s26
	v_or_b32_e32 v15, v5, v15
	s_cbranch_scc1 .LBB5_883
	s_branch .LBB5_886
.LBB5_884:                              ;   in Loop: Header=BB5_865 Depth=1
                                        ; implicit-def: $sgpr15
	s_branch .LBB5_887
.LBB5_885:                              ;   in Loop: Header=BB5_865 Depth=1
	v_mov_b32_e32 v14, 0
	v_mov_b32_e32 v15, 0
.LBB5_886:                              ;   in Loop: Header=BB5_865 Depth=1
	s_mov_b32 s15, 0
	s_cbranch_execnz .LBB5_888
.LBB5_887:                              ;   in Loop: Header=BB5_865 Depth=1
	global_load_dwordx2 v[14:15], v28, s[4:5]
	s_add_i32 s15, s28, -8
	s_add_u32 s4, s4, 8
	s_addc_u32 s5, s5, 0
.LBB5_888:                              ;   in Loop: Header=BB5_865 Depth=1
	s_cmp_gt_u32 s15, 7
	s_cbranch_scc1 .LBB5_892
; %bb.889:                              ;   in Loop: Header=BB5_865 Depth=1
	s_cmp_eq_u32 s15, 0
	s_cbranch_scc1 .LBB5_893
; %bb.890:                              ;   in Loop: Header=BB5_865 Depth=1
	v_mov_b32_e32 v16, 0
	s_mov_b64 s[24:25], 0
	v_mov_b32_e32 v17, 0
	s_mov_b64 s[26:27], 0
.LBB5_891:                              ;   Parent Loop BB5_865 Depth=1
                                        ; =>  This Inner Loop Header: Depth=2
	s_add_u32 s28, s4, s26
	s_addc_u32 s29, s5, s27
	global_load_ubyte v4, v28, s[28:29]
	s_add_u32 s26, s26, 1
	s_addc_u32 s27, s27, 0
	s_waitcnt vmcnt(0)
	v_and_b32_e32 v27, 0xffff, v4
	v_lshlrev_b64 v[4:5], s24, v[27:28]
	s_add_u32 s24, s24, 8
	s_addc_u32 s25, s25, 0
	v_or_b32_e32 v16, v4, v16
	s_cmp_lg_u32 s15, s26
	v_or_b32_e32 v17, v5, v17
	s_cbranch_scc1 .LBB5_891
	s_branch .LBB5_894
.LBB5_892:                              ;   in Loop: Header=BB5_865 Depth=1
                                        ; implicit-def: $vgpr16_vgpr17
                                        ; implicit-def: $sgpr28
	s_branch .LBB5_895
.LBB5_893:                              ;   in Loop: Header=BB5_865 Depth=1
	v_mov_b32_e32 v16, 0
	v_mov_b32_e32 v17, 0
.LBB5_894:                              ;   in Loop: Header=BB5_865 Depth=1
	s_mov_b32 s28, 0
	s_cbranch_execnz .LBB5_896
.LBB5_895:                              ;   in Loop: Header=BB5_865 Depth=1
	global_load_dwordx2 v[16:17], v28, s[4:5]
	s_add_i32 s28, s15, -8
	s_add_u32 s4, s4, 8
	s_addc_u32 s5, s5, 0
.LBB5_896:                              ;   in Loop: Header=BB5_865 Depth=1
	s_cmp_gt_u32 s28, 7
	s_cbranch_scc1 .LBB5_900
; %bb.897:                              ;   in Loop: Header=BB5_865 Depth=1
	s_cmp_eq_u32 s28, 0
	s_cbranch_scc1 .LBB5_901
; %bb.898:                              ;   in Loop: Header=BB5_865 Depth=1
	v_mov_b32_e32 v18, 0
	s_mov_b64 s[24:25], 0
	v_mov_b32_e32 v19, 0
	s_mov_b64 s[26:27], 0
.LBB5_899:                              ;   Parent Loop BB5_865 Depth=1
                                        ; =>  This Inner Loop Header: Depth=2
	s_add_u32 vcc_lo, s4, s26
	s_addc_u32 vcc_hi, s5, s27
	global_load_ubyte v4, v28, vcc
	s_add_u32 s26, s26, 1
	s_addc_u32 s27, s27, 0
	s_waitcnt vmcnt(0)
	v_and_b32_e32 v27, 0xffff, v4
	v_lshlrev_b64 v[4:5], s24, v[27:28]
	s_add_u32 s24, s24, 8
	s_addc_u32 s25, s25, 0
	v_or_b32_e32 v18, v4, v18
	s_cmp_lg_u32 s28, s26
	v_or_b32_e32 v19, v5, v19
	s_cbranch_scc1 .LBB5_899
	s_branch .LBB5_902
.LBB5_900:                              ;   in Loop: Header=BB5_865 Depth=1
                                        ; implicit-def: $sgpr15
	s_branch .LBB5_903
.LBB5_901:                              ;   in Loop: Header=BB5_865 Depth=1
	v_mov_b32_e32 v18, 0
	v_mov_b32_e32 v19, 0
.LBB5_902:                              ;   in Loop: Header=BB5_865 Depth=1
	s_mov_b32 s15, 0
	s_cbranch_execnz .LBB5_904
.LBB5_903:                              ;   in Loop: Header=BB5_865 Depth=1
	global_load_dwordx2 v[18:19], v28, s[4:5]
	s_add_i32 s15, s28, -8
	s_add_u32 s4, s4, 8
	s_addc_u32 s5, s5, 0
.LBB5_904:                              ;   in Loop: Header=BB5_865 Depth=1
	s_cmp_gt_u32 s15, 7
	s_cbranch_scc1 .LBB5_908
; %bb.905:                              ;   in Loop: Header=BB5_865 Depth=1
	s_cmp_eq_u32 s15, 0
	s_cbranch_scc1 .LBB5_909
; %bb.906:                              ;   in Loop: Header=BB5_865 Depth=1
	v_mov_b32_e32 v20, 0
	s_mov_b64 s[24:25], 0
	v_mov_b32_e32 v21, 0
	s_mov_b64 s[26:27], 0
.LBB5_907:                              ;   Parent Loop BB5_865 Depth=1
                                        ; =>  This Inner Loop Header: Depth=2
	s_add_u32 s28, s4, s26
	s_addc_u32 s29, s5, s27
	global_load_ubyte v4, v28, s[28:29]
	s_add_u32 s26, s26, 1
	s_addc_u32 s27, s27, 0
	s_waitcnt vmcnt(0)
	v_and_b32_e32 v27, 0xffff, v4
	v_lshlrev_b64 v[4:5], s24, v[27:28]
	s_add_u32 s24, s24, 8
	s_addc_u32 s25, s25, 0
	v_or_b32_e32 v20, v4, v20
	s_cmp_lg_u32 s15, s26
	v_or_b32_e32 v21, v5, v21
	s_cbranch_scc1 .LBB5_907
	s_branch .LBB5_910
.LBB5_908:                              ;   in Loop: Header=BB5_865 Depth=1
                                        ; implicit-def: $vgpr20_vgpr21
                                        ; implicit-def: $sgpr28
	s_branch .LBB5_911
.LBB5_909:                              ;   in Loop: Header=BB5_865 Depth=1
	v_mov_b32_e32 v20, 0
	v_mov_b32_e32 v21, 0
.LBB5_910:                              ;   in Loop: Header=BB5_865 Depth=1
	s_mov_b32 s28, 0
	s_cbranch_execnz .LBB5_912
.LBB5_911:                              ;   in Loop: Header=BB5_865 Depth=1
	global_load_dwordx2 v[20:21], v28, s[4:5]
	s_add_i32 s28, s15, -8
	s_add_u32 s4, s4, 8
	s_addc_u32 s5, s5, 0
.LBB5_912:                              ;   in Loop: Header=BB5_865 Depth=1
	s_cmp_gt_u32 s28, 7
	s_cbranch_scc1 .LBB5_916
; %bb.913:                              ;   in Loop: Header=BB5_865 Depth=1
	s_cmp_eq_u32 s28, 0
	s_cbranch_scc1 .LBB5_917
; %bb.914:                              ;   in Loop: Header=BB5_865 Depth=1
	v_mov_b32_e32 v22, 0
	s_mov_b64 s[24:25], 0
	v_mov_b32_e32 v23, 0
	s_mov_b64 s[26:27], s[4:5]
.LBB5_915:                              ;   Parent Loop BB5_865 Depth=1
                                        ; =>  This Inner Loop Header: Depth=2
	global_load_ubyte v4, v28, s[26:27]
	s_add_i32 s28, s28, -1
	s_waitcnt vmcnt(0)
	v_and_b32_e32 v27, 0xffff, v4
	v_lshlrev_b64 v[4:5], s24, v[27:28]
	s_add_u32 s24, s24, 8
	s_addc_u32 s25, s25, 0
	s_add_u32 s26, s26, 1
	s_addc_u32 s27, s27, 0
	v_or_b32_e32 v22, v4, v22
	s_cmp_lg_u32 s28, 0
	v_or_b32_e32 v23, v5, v23
	s_cbranch_scc1 .LBB5_915
	s_branch .LBB5_918
.LBB5_916:                              ;   in Loop: Header=BB5_865 Depth=1
	s_branch .LBB5_919
.LBB5_917:                              ;   in Loop: Header=BB5_865 Depth=1
	v_mov_b32_e32 v22, 0
	v_mov_b32_e32 v23, 0
.LBB5_918:                              ;   in Loop: Header=BB5_865 Depth=1
	s_cbranch_execnz .LBB5_920
.LBB5_919:                              ;   in Loop: Header=BB5_865 Depth=1
	global_load_dwordx2 v[22:23], v28, s[4:5]
.LBB5_920:                              ;   in Loop: Header=BB5_865 Depth=1
	v_readfirstlane_b32 s4, v32
	s_waitcnt vmcnt(0)
	v_mov_b32_e32 v4, 0
	v_mov_b32_e32 v5, 0
	v_cmp_eq_u32_e64 s[4:5], s4, v32
	s_and_saveexec_b64 s[24:25], s[4:5]
	s_cbranch_execz .LBB5_926
; %bb.921:                              ;   in Loop: Header=BB5_865 Depth=1
	global_load_dwordx2 v[26:27], v28, s[6:7] offset:24 glc
	s_waitcnt vmcnt(0)
	buffer_wbinvl1_vol
	global_load_dwordx2 v[4:5], v28, s[6:7] offset:40
	global_load_dwordx2 v[8:9], v28, s[6:7]
	s_waitcnt vmcnt(1)
	v_and_b32_e32 v4, v4, v26
	v_and_b32_e32 v5, v5, v27
	v_mul_lo_u32 v5, v5, 24
	v_mul_hi_u32 v24, v4, 24
	v_mul_lo_u32 v4, v4, 24
	v_add_u32_e32 v5, v24, v5
	s_waitcnt vmcnt(0)
	v_add_co_u32_e32 v4, vcc, v8, v4
	v_addc_co_u32_e32 v5, vcc, v9, v5, vcc
	global_load_dwordx2 v[24:25], v[4:5], off glc
	s_waitcnt vmcnt(0)
	global_atomic_cmpswap_x2 v[4:5], v28, v[24:27], s[6:7] offset:24 glc
	s_waitcnt vmcnt(0)
	buffer_wbinvl1_vol
	v_cmp_ne_u64_e32 vcc, v[4:5], v[26:27]
	s_and_saveexec_b64 s[26:27], vcc
	s_cbranch_execz .LBB5_925
; %bb.922:                              ;   in Loop: Header=BB5_865 Depth=1
	s_mov_b64 s[28:29], 0
.LBB5_923:                              ;   Parent Loop BB5_865 Depth=1
                                        ; =>  This Inner Loop Header: Depth=2
	s_sleep 1
	global_load_dwordx2 v[8:9], v28, s[6:7] offset:40
	global_load_dwordx2 v[24:25], v28, s[6:7]
	v_mov_b32_e32 v27, v5
	v_mov_b32_e32 v26, v4
	s_waitcnt vmcnt(1)
	v_and_b32_e32 v4, v8, v26
	s_waitcnt vmcnt(0)
	v_mad_u64_u32 v[4:5], vcc, v4, 24, v[24:25]
	v_and_b32_e32 v8, v9, v27
	v_mad_u64_u32 v[8:9], vcc, v8, 24, v[5:6]
	v_mov_b32_e32 v5, v8
	global_load_dwordx2 v[24:25], v[4:5], off glc
	s_waitcnt vmcnt(0)
	global_atomic_cmpswap_x2 v[4:5], v28, v[24:27], s[6:7] offset:24 glc
	s_waitcnt vmcnt(0)
	buffer_wbinvl1_vol
	v_cmp_eq_u64_e32 vcc, v[4:5], v[26:27]
	s_or_b64 s[28:29], vcc, s[28:29]
	s_andn2_b64 exec, exec, s[28:29]
	s_cbranch_execnz .LBB5_923
; %bb.924:                              ;   in Loop: Header=BB5_865 Depth=1
	s_or_b64 exec, exec, s[28:29]
.LBB5_925:                              ;   in Loop: Header=BB5_865 Depth=1
	s_or_b64 exec, exec, s[26:27]
.LBB5_926:                              ;   in Loop: Header=BB5_865 Depth=1
	s_or_b64 exec, exec, s[24:25]
	global_load_dwordx2 v[8:9], v28, s[6:7] offset:40
	global_load_dwordx4 v[24:27], v28, s[6:7]
	v_readfirstlane_b32 s24, v4
	v_readfirstlane_b32 s25, v5
	s_mov_b64 s[26:27], exec
	s_waitcnt vmcnt(1)
	v_readfirstlane_b32 s28, v8
	v_readfirstlane_b32 s29, v9
	s_and_b64 s[28:29], s[24:25], s[28:29]
	s_mul_i32 s15, s29, 24
	s_mul_hi_u32 vcc_lo, s28, 24
	s_mul_i32 vcc_hi, s28, 24
	s_add_i32 s15, vcc_lo, s15
	v_mov_b32_e32 v4, s15
	s_waitcnt vmcnt(0)
	v_add_co_u32_e32 v29, vcc, vcc_hi, v24
	v_addc_co_u32_e32 v30, vcc, v25, v4, vcc
	s_and_saveexec_b64 vcc, s[4:5]
	s_cbranch_execz .LBB5_928
; %bb.927:                              ;   in Loop: Header=BB5_865 Depth=1
	v_mov_b32_e32 v4, s26
	v_mov_b32_e32 v5, s27
	global_store_dwordx4 v[29:30], v[4:7], off offset:8
.LBB5_928:                              ;   in Loop: Header=BB5_865 Depth=1
	s_or_b64 exec, exec, vcc
	s_lshl_b64 s[26:27], s[28:29], 12
	v_mov_b32_e32 v4, s27
	v_add_co_u32_e32 v26, vcc, s26, v26
	v_addc_co_u32_e32 v34, vcc, v27, v4, vcc
	v_cmp_gt_u64_e64 vcc, s[20:21], 56
	v_or_b32_e32 v5, v2, v33
	s_lshl_b32 s15, s22, 2
	v_cndmask_b32_e32 v2, v5, v2, vcc
	s_add_i32 s15, s15, 28
	v_or_b32_e32 v4, 0, v3
	s_and_b32 s15, s15, 0x1e0
	v_and_b32_e32 v2, 0xffffff1f, v2
	v_cndmask_b32_e32 v9, v4, v3, vcc
	v_or_b32_e32 v8, s15, v2
	v_readfirstlane_b32 s26, v26
	v_readfirstlane_b32 s27, v34
	s_nop 4
	global_store_dwordx4 v31, v[8:11], s[26:27]
	global_store_dwordx4 v31, v[12:15], s[26:27] offset:16
	global_store_dwordx4 v31, v[16:19], s[26:27] offset:32
	;; [unrolled: 1-line block ×3, first 2 shown]
	s_and_saveexec_b64 s[26:27], s[4:5]
	s_cbranch_execz .LBB5_936
; %bb.929:                              ;   in Loop: Header=BB5_865 Depth=1
	global_load_dwordx2 v[12:13], v28, s[6:7] offset:32 glc
	global_load_dwordx2 v[2:3], v28, s[6:7] offset:40
	v_mov_b32_e32 v10, s24
	v_mov_b32_e32 v11, s25
	s_waitcnt vmcnt(0)
	v_readfirstlane_b32 s28, v2
	v_readfirstlane_b32 s29, v3
	s_and_b64 s[28:29], s[28:29], s[24:25]
	s_mul_i32 s15, s29, 24
	s_mul_hi_u32 s29, s28, 24
	s_mul_i32 s28, s28, 24
	s_add_i32 s15, s29, s15
	v_mov_b32_e32 v2, s15
	v_add_co_u32_e32 v8, vcc, s28, v24
	v_addc_co_u32_e32 v9, vcc, v25, v2, vcc
	global_store_dwordx2 v[8:9], v[12:13], off
	s_waitcnt vmcnt(0)
	global_atomic_cmpswap_x2 v[4:5], v28, v[10:13], s[6:7] offset:32 glc
	s_waitcnt vmcnt(0)
	v_cmp_ne_u64_e32 vcc, v[4:5], v[12:13]
	s_and_saveexec_b64 s[28:29], vcc
	s_cbranch_execz .LBB5_932
; %bb.930:                              ;   in Loop: Header=BB5_865 Depth=1
	s_mov_b64 s[30:31], 0
.LBB5_931:                              ;   Parent Loop BB5_865 Depth=1
                                        ; =>  This Inner Loop Header: Depth=2
	s_sleep 1
	global_store_dwordx2 v[8:9], v[4:5], off
	v_mov_b32_e32 v2, s24
	v_mov_b32_e32 v3, s25
	s_waitcnt vmcnt(0)
	global_atomic_cmpswap_x2 v[2:3], v28, v[2:5], s[6:7] offset:32 glc
	s_waitcnt vmcnt(0)
	v_cmp_eq_u64_e32 vcc, v[2:3], v[4:5]
	v_mov_b32_e32 v5, v3
	s_or_b64 s[30:31], vcc, s[30:31]
	v_mov_b32_e32 v4, v2
	s_andn2_b64 exec, exec, s[30:31]
	s_cbranch_execnz .LBB5_931
.LBB5_932:                              ;   in Loop: Header=BB5_865 Depth=1
	s_or_b64 exec, exec, s[28:29]
	global_load_dwordx2 v[2:3], v28, s[6:7] offset:16
	s_mov_b64 s[30:31], exec
	v_mbcnt_lo_u32_b32 v4, s30, 0
	v_mbcnt_hi_u32_b32 v4, s31, v4
	v_cmp_eq_u32_e32 vcc, 0, v4
	s_and_saveexec_b64 s[28:29], vcc
	s_cbranch_execz .LBB5_934
; %bb.933:                              ;   in Loop: Header=BB5_865 Depth=1
	s_bcnt1_i32_b64 s15, s[30:31]
	v_mov_b32_e32 v27, s15
	s_waitcnt vmcnt(0)
	global_atomic_add_x2 v[2:3], v[27:28], off offset:8
.LBB5_934:                              ;   in Loop: Header=BB5_865 Depth=1
	s_or_b64 exec, exec, s[28:29]
	s_waitcnt vmcnt(0)
	global_load_dwordx2 v[4:5], v[2:3], off offset:16
	s_waitcnt vmcnt(0)
	v_cmp_eq_u64_e32 vcc, 0, v[4:5]
	s_cbranch_vccnz .LBB5_936
; %bb.935:                              ;   in Loop: Header=BB5_865 Depth=1
	global_load_dword v27, v[2:3], off offset:24
	s_waitcnt vmcnt(0)
	v_and_b32_e32 v2, 0xffffff, v27
	v_readfirstlane_b32 m0, v2
	global_store_dwordx2 v[4:5], v[27:28], off
	s_sendmsg sendmsg(MSG_INTERRUPT)
.LBB5_936:                              ;   in Loop: Header=BB5_865 Depth=1
	s_or_b64 exec, exec, s[26:27]
	v_add_co_u32_e32 v2, vcc, v26, v31
	v_addc_co_u32_e32 v3, vcc, 0, v34, vcc
	s_branch .LBB5_940
.LBB5_937:                              ;   in Loop: Header=BB5_940 Depth=2
	s_or_b64 exec, exec, s[26:27]
	v_readfirstlane_b32 s15, v4
	s_cmp_eq_u32 s15, 0
	s_cbranch_scc1 .LBB5_939
; %bb.938:                              ;   in Loop: Header=BB5_940 Depth=2
	s_sleep 1
	s_cbranch_execnz .LBB5_940
	s_branch .LBB5_942
.LBB5_939:                              ;   in Loop: Header=BB5_865 Depth=1
	s_branch .LBB5_942
.LBB5_940:                              ;   Parent Loop BB5_865 Depth=1
                                        ; =>  This Inner Loop Header: Depth=2
	v_mov_b32_e32 v4, 1
	s_and_saveexec_b64 s[26:27], s[4:5]
	s_cbranch_execz .LBB5_937
; %bb.941:                              ;   in Loop: Header=BB5_940 Depth=2
	global_load_dword v4, v[29:30], off offset:20 glc
	s_waitcnt vmcnt(0)
	buffer_wbinvl1_vol
	v_and_b32_e32 v4, 1, v4
	s_branch .LBB5_937
.LBB5_942:                              ;   in Loop: Header=BB5_865 Depth=1
	global_load_dwordx4 v[2:5], v[2:3], off
	s_and_saveexec_b64 s[26:27], s[4:5]
	s_cbranch_execz .LBB5_864
; %bb.943:                              ;   in Loop: Header=BB5_865 Depth=1
	global_load_dwordx2 v[4:5], v28, s[6:7] offset:40
	global_load_dwordx2 v[12:13], v28, s[6:7] offset:24 glc
	global_load_dwordx2 v[14:15], v28, s[6:7]
	v_mov_b32_e32 v9, s25
	s_waitcnt vmcnt(2)
	v_add_co_u32_e32 v10, vcc, 1, v4
	v_addc_co_u32_e32 v11, vcc, 0, v5, vcc
	v_add_co_u32_e32 v8, vcc, s24, v10
	v_addc_co_u32_e32 v9, vcc, v11, v9, vcc
	v_cmp_eq_u64_e32 vcc, 0, v[8:9]
	v_cndmask_b32_e32 v9, v9, v11, vcc
	v_cndmask_b32_e32 v8, v8, v10, vcc
	v_and_b32_e32 v5, v9, v5
	v_and_b32_e32 v4, v8, v4
	v_mul_lo_u32 v5, v5, 24
	v_mul_hi_u32 v11, v4, 24
	v_mul_lo_u32 v4, v4, 24
	s_waitcnt vmcnt(1)
	v_mov_b32_e32 v10, v12
	v_add_u32_e32 v5, v11, v5
	s_waitcnt vmcnt(0)
	v_add_co_u32_e32 v4, vcc, v14, v4
	v_addc_co_u32_e32 v5, vcc, v15, v5, vcc
	global_store_dwordx2 v[4:5], v[12:13], off
	v_mov_b32_e32 v11, v13
	s_waitcnt vmcnt(0)
	global_atomic_cmpswap_x2 v[10:11], v28, v[8:11], s[6:7] offset:24 glc
	s_waitcnt vmcnt(0)
	v_cmp_ne_u64_e32 vcc, v[10:11], v[12:13]
	s_and_b64 exec, exec, vcc
	s_cbranch_execz .LBB5_864
; %bb.944:                              ;   in Loop: Header=BB5_865 Depth=1
	s_mov_b64 s[4:5], 0
.LBB5_945:                              ;   Parent Loop BB5_865 Depth=1
                                        ; =>  This Inner Loop Header: Depth=2
	s_sleep 1
	global_store_dwordx2 v[4:5], v[10:11], off
	s_waitcnt vmcnt(0)
	global_atomic_cmpswap_x2 v[12:13], v28, v[8:11], s[6:7] offset:24 glc
	s_waitcnt vmcnt(0)
	v_cmp_eq_u64_e32 vcc, v[12:13], v[10:11]
	v_mov_b32_e32 v10, v12
	s_or_b64 s[4:5], vcc, s[4:5]
	v_mov_b32_e32 v11, v13
	s_andn2_b64 exec, exec, s[4:5]
	s_cbranch_execnz .LBB5_945
	s_branch .LBB5_864
.LBB5_946:
	s_branch .LBB5_974
.LBB5_947:
                                        ; implicit-def: $vgpr2_vgpr3
	s_cbranch_execz .LBB5_974
; %bb.948:
	v_readfirstlane_b32 s4, v32
	v_mov_b32_e32 v8, 0
	v_mov_b32_e32 v9, 0
	v_cmp_eq_u32_e64 s[4:5], s4, v32
	s_and_saveexec_b64 s[18:19], s[4:5]
	s_cbranch_execz .LBB5_954
; %bb.949:
	s_waitcnt vmcnt(0)
	v_mov_b32_e32 v2, 0
	global_load_dwordx2 v[5:6], v2, s[6:7] offset:24 glc
	s_waitcnt vmcnt(0)
	buffer_wbinvl1_vol
	global_load_dwordx2 v[3:4], v2, s[6:7] offset:40
	global_load_dwordx2 v[7:8], v2, s[6:7]
	s_waitcnt vmcnt(1)
	v_and_b32_e32 v3, v3, v5
	v_and_b32_e32 v4, v4, v6
	v_mul_lo_u32 v4, v4, 24
	v_mul_hi_u32 v9, v3, 24
	v_mul_lo_u32 v3, v3, 24
	v_add_u32_e32 v4, v9, v4
	s_waitcnt vmcnt(0)
	v_add_co_u32_e32 v3, vcc, v7, v3
	v_addc_co_u32_e32 v4, vcc, v8, v4, vcc
	global_load_dwordx2 v[3:4], v[3:4], off glc
	s_waitcnt vmcnt(0)
	global_atomic_cmpswap_x2 v[8:9], v2, v[3:6], s[6:7] offset:24 glc
	s_waitcnt vmcnt(0)
	buffer_wbinvl1_vol
	v_cmp_ne_u64_e32 vcc, v[8:9], v[5:6]
	s_and_saveexec_b64 s[20:21], vcc
	s_cbranch_execz .LBB5_953
; %bb.950:
	s_mov_b64 s[22:23], 0
.LBB5_951:                              ; =>This Inner Loop Header: Depth=1
	s_sleep 1
	global_load_dwordx2 v[3:4], v2, s[6:7] offset:40
	global_load_dwordx2 v[10:11], v2, s[6:7]
	v_mov_b32_e32 v5, v8
	v_mov_b32_e32 v6, v9
	s_waitcnt vmcnt(1)
	v_and_b32_e32 v3, v3, v5
	s_waitcnt vmcnt(0)
	v_mad_u64_u32 v[7:8], s[24:25], v3, 24, v[10:11]
	v_and_b32_e32 v4, v4, v6
	v_mov_b32_e32 v3, v8
	v_mad_u64_u32 v[3:4], s[24:25], v4, 24, v[3:4]
	v_mov_b32_e32 v8, v3
	global_load_dwordx2 v[3:4], v[7:8], off glc
	s_waitcnt vmcnt(0)
	global_atomic_cmpswap_x2 v[8:9], v2, v[3:6], s[6:7] offset:24 glc
	s_waitcnt vmcnt(0)
	buffer_wbinvl1_vol
	v_cmp_eq_u64_e32 vcc, v[8:9], v[5:6]
	s_or_b64 s[22:23], vcc, s[22:23]
	s_andn2_b64 exec, exec, s[22:23]
	s_cbranch_execnz .LBB5_951
; %bb.952:
	s_or_b64 exec, exec, s[22:23]
.LBB5_953:
	s_or_b64 exec, exec, s[20:21]
.LBB5_954:
	s_or_b64 exec, exec, s[18:19]
	s_waitcnt vmcnt(0)
	v_mov_b32_e32 v2, 0
	global_load_dwordx2 v[10:11], v2, s[6:7] offset:40
	global_load_dwordx4 v[4:7], v2, s[6:7]
	v_readfirstlane_b32 s18, v8
	v_readfirstlane_b32 s19, v9
	s_mov_b64 s[20:21], exec
	s_waitcnt vmcnt(1)
	v_readfirstlane_b32 s22, v10
	v_readfirstlane_b32 s23, v11
	s_and_b64 s[22:23], s[18:19], s[22:23]
	s_mul_i32 s15, s23, 24
	s_mul_hi_u32 s24, s22, 24
	s_mul_i32 s25, s22, 24
	s_add_i32 s15, s24, s15
	v_mov_b32_e32 v3, s15
	s_waitcnt vmcnt(0)
	v_add_co_u32_e32 v8, vcc, s25, v4
	v_addc_co_u32_e32 v9, vcc, v5, v3, vcc
	s_and_saveexec_b64 s[24:25], s[4:5]
	s_cbranch_execz .LBB5_956
; %bb.955:
	v_mov_b32_e32 v10, s20
	v_mov_b32_e32 v11, s21
	;; [unrolled: 1-line block ×4, first 2 shown]
	global_store_dwordx4 v[8:9], v[10:13], off offset:8
.LBB5_956:
	s_or_b64 exec, exec, s[24:25]
	s_lshl_b64 s[20:21], s[22:23], 12
	v_mov_b32_e32 v3, s21
	v_add_co_u32_e32 v10, vcc, s20, v6
	v_addc_co_u32_e32 v11, vcc, v7, v3, vcc
	s_movk_i32 s15, 0xff1f
	v_and_or_b32 v0, v0, s15, 32
	s_mov_b32 s20, 0
	v_mov_b32_e32 v3, v2
	v_readfirstlane_b32 s24, v10
	v_readfirstlane_b32 s25, v11
	v_add_co_u32_e32 v6, vcc, v10, v31
	s_mov_b32 s21, s20
	s_mov_b32 s22, s20
	;; [unrolled: 1-line block ×3, first 2 shown]
	s_nop 0
	global_store_dwordx4 v31, v[0:3], s[24:25]
	v_addc_co_u32_e32 v7, vcc, 0, v11, vcc
	v_mov_b32_e32 v0, s20
	v_mov_b32_e32 v1, s21
	;; [unrolled: 1-line block ×4, first 2 shown]
	global_store_dwordx4 v31, v[0:3], s[24:25] offset:16
	global_store_dwordx4 v31, v[0:3], s[24:25] offset:32
	;; [unrolled: 1-line block ×3, first 2 shown]
	s_and_saveexec_b64 s[20:21], s[4:5]
	s_cbranch_execz .LBB5_964
; %bb.957:
	v_mov_b32_e32 v10, 0
	global_load_dwordx2 v[13:14], v10, s[6:7] offset:32 glc
	global_load_dwordx2 v[0:1], v10, s[6:7] offset:40
	v_mov_b32_e32 v11, s18
	v_mov_b32_e32 v12, s19
	s_waitcnt vmcnt(0)
	v_readfirstlane_b32 s22, v0
	v_readfirstlane_b32 s23, v1
	s_and_b64 s[22:23], s[22:23], s[18:19]
	s_mul_i32 s15, s23, 24
	s_mul_hi_u32 s23, s22, 24
	s_mul_i32 s22, s22, 24
	s_add_i32 s15, s23, s15
	v_mov_b32_e32 v0, s15
	v_add_co_u32_e32 v4, vcc, s22, v4
	v_addc_co_u32_e32 v5, vcc, v5, v0, vcc
	global_store_dwordx2 v[4:5], v[13:14], off
	s_waitcnt vmcnt(0)
	global_atomic_cmpswap_x2 v[2:3], v10, v[11:14], s[6:7] offset:32 glc
	s_waitcnt vmcnt(0)
	v_cmp_ne_u64_e32 vcc, v[2:3], v[13:14]
	s_and_saveexec_b64 s[22:23], vcc
	s_cbranch_execz .LBB5_960
; %bb.958:
	s_mov_b64 s[24:25], 0
.LBB5_959:                              ; =>This Inner Loop Header: Depth=1
	s_sleep 1
	global_store_dwordx2 v[4:5], v[2:3], off
	v_mov_b32_e32 v0, s18
	v_mov_b32_e32 v1, s19
	s_waitcnt vmcnt(0)
	global_atomic_cmpswap_x2 v[0:1], v10, v[0:3], s[6:7] offset:32 glc
	s_waitcnt vmcnt(0)
	v_cmp_eq_u64_e32 vcc, v[0:1], v[2:3]
	v_mov_b32_e32 v3, v1
	s_or_b64 s[24:25], vcc, s[24:25]
	v_mov_b32_e32 v2, v0
	s_andn2_b64 exec, exec, s[24:25]
	s_cbranch_execnz .LBB5_959
.LBB5_960:
	s_or_b64 exec, exec, s[22:23]
	v_mov_b32_e32 v3, 0
	global_load_dwordx2 v[0:1], v3, s[6:7] offset:16
	s_mov_b64 s[22:23], exec
	v_mbcnt_lo_u32_b32 v2, s22, 0
	v_mbcnt_hi_u32_b32 v2, s23, v2
	v_cmp_eq_u32_e32 vcc, 0, v2
	s_and_saveexec_b64 s[24:25], vcc
	s_cbranch_execz .LBB5_962
; %bb.961:
	s_bcnt1_i32_b64 s15, s[22:23]
	v_mov_b32_e32 v2, s15
	s_waitcnt vmcnt(0)
	global_atomic_add_x2 v[0:1], v[2:3], off offset:8
.LBB5_962:
	s_or_b64 exec, exec, s[24:25]
	s_waitcnt vmcnt(0)
	global_load_dwordx2 v[2:3], v[0:1], off offset:16
	s_waitcnt vmcnt(0)
	v_cmp_eq_u64_e32 vcc, 0, v[2:3]
	s_cbranch_vccnz .LBB5_964
; %bb.963:
	global_load_dword v0, v[0:1], off offset:24
	v_mov_b32_e32 v1, 0
	s_waitcnt vmcnt(0)
	global_store_dwordx2 v[2:3], v[0:1], off
	v_and_b32_e32 v0, 0xffffff, v0
	v_readfirstlane_b32 m0, v0
	s_sendmsg sendmsg(MSG_INTERRUPT)
.LBB5_964:
	s_or_b64 exec, exec, s[20:21]
	s_branch .LBB5_968
.LBB5_965:                              ;   in Loop: Header=BB5_968 Depth=1
	s_or_b64 exec, exec, s[20:21]
	v_readfirstlane_b32 s15, v0
	s_cmp_eq_u32 s15, 0
	s_cbranch_scc1 .LBB5_967
; %bb.966:                              ;   in Loop: Header=BB5_968 Depth=1
	s_sleep 1
	s_cbranch_execnz .LBB5_968
	s_branch .LBB5_970
.LBB5_967:
	s_branch .LBB5_970
.LBB5_968:                              ; =>This Inner Loop Header: Depth=1
	v_mov_b32_e32 v0, 1
	s_and_saveexec_b64 s[20:21], s[4:5]
	s_cbranch_execz .LBB5_965
; %bb.969:                              ;   in Loop: Header=BB5_968 Depth=1
	global_load_dword v0, v[8:9], off offset:20 glc
	s_waitcnt vmcnt(0)
	buffer_wbinvl1_vol
	v_and_b32_e32 v0, 1, v0
	s_branch .LBB5_965
.LBB5_970:
	global_load_dwordx2 v[2:3], v[6:7], off
	s_and_saveexec_b64 s[20:21], s[4:5]
	s_cbranch_execz .LBB5_973
; %bb.971:
	v_mov_b32_e32 v8, 0
	global_load_dwordx2 v[0:1], v8, s[6:7] offset:40
	global_load_dwordx2 v[9:10], v8, s[6:7] offset:24 glc
	global_load_dwordx2 v[11:12], v8, s[6:7]
	v_mov_b32_e32 v5, s19
	s_mov_b64 s[4:5], 0
	s_waitcnt vmcnt(2)
	v_add_co_u32_e32 v6, vcc, 1, v0
	v_addc_co_u32_e32 v7, vcc, 0, v1, vcc
	v_add_co_u32_e32 v4, vcc, s18, v6
	v_addc_co_u32_e32 v5, vcc, v7, v5, vcc
	v_cmp_eq_u64_e32 vcc, 0, v[4:5]
	v_cndmask_b32_e32 v5, v5, v7, vcc
	v_cndmask_b32_e32 v4, v4, v6, vcc
	v_and_b32_e32 v1, v5, v1
	v_and_b32_e32 v0, v4, v0
	v_mul_lo_u32 v1, v1, 24
	v_mul_hi_u32 v7, v0, 24
	v_mul_lo_u32 v0, v0, 24
	s_waitcnt vmcnt(1)
	v_mov_b32_e32 v6, v9
	v_add_u32_e32 v1, v7, v1
	s_waitcnt vmcnt(0)
	v_add_co_u32_e32 v0, vcc, v11, v0
	v_addc_co_u32_e32 v1, vcc, v12, v1, vcc
	global_store_dwordx2 v[0:1], v[9:10], off
	v_mov_b32_e32 v7, v10
	s_waitcnt vmcnt(0)
	global_atomic_cmpswap_x2 v[6:7], v8, v[4:7], s[6:7] offset:24 glc
	s_waitcnt vmcnt(0)
	v_cmp_ne_u64_e32 vcc, v[6:7], v[9:10]
	s_and_b64 exec, exec, vcc
	s_cbranch_execz .LBB5_973
.LBB5_972:                              ; =>This Inner Loop Header: Depth=1
	s_sleep 1
	global_store_dwordx2 v[0:1], v[6:7], off
	s_waitcnt vmcnt(0)
	global_atomic_cmpswap_x2 v[9:10], v8, v[4:7], s[6:7] offset:24 glc
	s_waitcnt vmcnt(0)
	v_cmp_eq_u64_e32 vcc, v[9:10], v[6:7]
	v_mov_b32_e32 v6, v9
	s_or_b64 s[4:5], vcc, s[4:5]
	v_mov_b32_e32 v7, v10
	s_andn2_b64 exec, exec, s[4:5]
	s_cbranch_execnz .LBB5_972
.LBB5_973:
	s_or_b64 exec, exec, s[20:21]
.LBB5_974:
	v_readfirstlane_b32 s4, v32
	s_waitcnt vmcnt(0)
	v_mov_b32_e32 v0, 0
	v_mov_b32_e32 v1, 0
	v_cmp_eq_u32_e64 s[4:5], s4, v32
	s_and_saveexec_b64 s[18:19], s[4:5]
	s_cbranch_execz .LBB5_980
; %bb.975:
	v_mov_b32_e32 v4, 0
	global_load_dwordx2 v[7:8], v4, s[6:7] offset:24 glc
	s_waitcnt vmcnt(0)
	buffer_wbinvl1_vol
	global_load_dwordx2 v[0:1], v4, s[6:7] offset:40
	global_load_dwordx2 v[5:6], v4, s[6:7]
	s_waitcnt vmcnt(1)
	v_and_b32_e32 v0, v0, v7
	v_and_b32_e32 v1, v1, v8
	v_mul_lo_u32 v1, v1, 24
	v_mul_hi_u32 v9, v0, 24
	v_mul_lo_u32 v0, v0, 24
	v_add_u32_e32 v1, v9, v1
	s_waitcnt vmcnt(0)
	v_add_co_u32_e32 v0, vcc, v5, v0
	v_addc_co_u32_e32 v1, vcc, v6, v1, vcc
	global_load_dwordx2 v[5:6], v[0:1], off glc
	s_waitcnt vmcnt(0)
	global_atomic_cmpswap_x2 v[0:1], v4, v[5:8], s[6:7] offset:24 glc
	s_waitcnt vmcnt(0)
	buffer_wbinvl1_vol
	v_cmp_ne_u64_e32 vcc, v[0:1], v[7:8]
	s_and_saveexec_b64 s[20:21], vcc
	s_cbranch_execz .LBB5_979
; %bb.976:
	s_mov_b64 s[22:23], 0
.LBB5_977:                              ; =>This Inner Loop Header: Depth=1
	s_sleep 1
	global_load_dwordx2 v[5:6], v4, s[6:7] offset:40
	global_load_dwordx2 v[9:10], v4, s[6:7]
	v_mov_b32_e32 v8, v1
	v_mov_b32_e32 v7, v0
	s_waitcnt vmcnt(1)
	v_and_b32_e32 v0, v5, v7
	s_waitcnt vmcnt(0)
	v_mad_u64_u32 v[0:1], s[24:25], v0, 24, v[9:10]
	v_and_b32_e32 v5, v6, v8
	v_mad_u64_u32 v[5:6], s[24:25], v5, 24, v[1:2]
	v_mov_b32_e32 v1, v5
	global_load_dwordx2 v[5:6], v[0:1], off glc
	s_waitcnt vmcnt(0)
	global_atomic_cmpswap_x2 v[0:1], v4, v[5:8], s[6:7] offset:24 glc
	s_waitcnt vmcnt(0)
	buffer_wbinvl1_vol
	v_cmp_eq_u64_e32 vcc, v[0:1], v[7:8]
	s_or_b64 s[22:23], vcc, s[22:23]
	s_andn2_b64 exec, exec, s[22:23]
	s_cbranch_execnz .LBB5_977
; %bb.978:
	s_or_b64 exec, exec, s[22:23]
.LBB5_979:
	s_or_b64 exec, exec, s[20:21]
.LBB5_980:
	s_or_b64 exec, exec, s[18:19]
	v_mov_b32_e32 v5, 0
	global_load_dwordx2 v[10:11], v5, s[6:7] offset:40
	global_load_dwordx4 v[6:9], v5, s[6:7]
	v_readfirstlane_b32 s18, v0
	v_readfirstlane_b32 s19, v1
	s_mov_b64 s[20:21], exec
	s_waitcnt vmcnt(1)
	v_readfirstlane_b32 s22, v10
	v_readfirstlane_b32 s23, v11
	s_and_b64 s[22:23], s[18:19], s[22:23]
	s_mul_i32 s15, s23, 24
	s_mul_hi_u32 s24, s22, 24
	s_mul_i32 s25, s22, 24
	s_add_i32 s15, s24, s15
	v_mov_b32_e32 v0, s15
	s_waitcnt vmcnt(0)
	v_add_co_u32_e32 v10, vcc, s25, v6
	v_addc_co_u32_e32 v11, vcc, v7, v0, vcc
	s_and_saveexec_b64 s[24:25], s[4:5]
	s_cbranch_execz .LBB5_982
; %bb.981:
	v_mov_b32_e32 v12, s20
	v_mov_b32_e32 v13, s21
	;; [unrolled: 1-line block ×4, first 2 shown]
	global_store_dwordx4 v[10:11], v[12:15], off offset:8
.LBB5_982:
	s_or_b64 exec, exec, s[24:25]
	s_lshl_b64 s[20:21], s[22:23], 12
	v_mov_b32_e32 v0, s21
	v_add_co_u32_e32 v1, vcc, s20, v8
	v_addc_co_u32_e32 v0, vcc, v9, v0, vcc
	s_movk_i32 s15, 0xff1d
	v_and_or_b32 v2, v2, s15, 34
	s_mov_b32 s20, 0
	v_mov_b32_e32 v4, 0x400
	v_readfirstlane_b32 s24, v1
	v_readfirstlane_b32 s25, v0
	s_mov_b32 s21, s20
	s_mov_b32 s22, s20
	;; [unrolled: 1-line block ×3, first 2 shown]
	s_nop 1
	global_store_dwordx4 v31, v[2:5], s[24:25]
	v_mov_b32_e32 v0, s20
	v_mov_b32_e32 v1, s21
	;; [unrolled: 1-line block ×4, first 2 shown]
	global_store_dwordx4 v31, v[0:3], s[24:25] offset:16
	global_store_dwordx4 v31, v[0:3], s[24:25] offset:32
	;; [unrolled: 1-line block ×3, first 2 shown]
	s_and_saveexec_b64 s[20:21], s[4:5]
	s_cbranch_execz .LBB5_990
; %bb.983:
	v_mov_b32_e32 v8, 0
	global_load_dwordx2 v[14:15], v8, s[6:7] offset:32 glc
	global_load_dwordx2 v[0:1], v8, s[6:7] offset:40
	v_mov_b32_e32 v12, s18
	v_mov_b32_e32 v13, s19
	s_waitcnt vmcnt(0)
	v_readfirstlane_b32 s22, v0
	v_readfirstlane_b32 s23, v1
	s_and_b64 s[22:23], s[22:23], s[18:19]
	s_mul_i32 s15, s23, 24
	s_mul_hi_u32 s23, s22, 24
	s_mul_i32 s22, s22, 24
	s_add_i32 s15, s23, s15
	v_mov_b32_e32 v0, s15
	v_add_co_u32_e32 v4, vcc, s22, v6
	v_addc_co_u32_e32 v5, vcc, v7, v0, vcc
	global_store_dwordx2 v[4:5], v[14:15], off
	s_waitcnt vmcnt(0)
	global_atomic_cmpswap_x2 v[2:3], v8, v[12:15], s[6:7] offset:32 glc
	s_waitcnt vmcnt(0)
	v_cmp_ne_u64_e32 vcc, v[2:3], v[14:15]
	s_and_saveexec_b64 s[22:23], vcc
	s_cbranch_execz .LBB5_986
; %bb.984:
	s_mov_b64 s[24:25], 0
.LBB5_985:                              ; =>This Inner Loop Header: Depth=1
	s_sleep 1
	global_store_dwordx2 v[4:5], v[2:3], off
	v_mov_b32_e32 v0, s18
	v_mov_b32_e32 v1, s19
	s_waitcnt vmcnt(0)
	global_atomic_cmpswap_x2 v[0:1], v8, v[0:3], s[6:7] offset:32 glc
	s_waitcnt vmcnt(0)
	v_cmp_eq_u64_e32 vcc, v[0:1], v[2:3]
	v_mov_b32_e32 v3, v1
	s_or_b64 s[24:25], vcc, s[24:25]
	v_mov_b32_e32 v2, v0
	s_andn2_b64 exec, exec, s[24:25]
	s_cbranch_execnz .LBB5_985
.LBB5_986:
	s_or_b64 exec, exec, s[22:23]
	v_mov_b32_e32 v3, 0
	global_load_dwordx2 v[0:1], v3, s[6:7] offset:16
	s_mov_b64 s[22:23], exec
	v_mbcnt_lo_u32_b32 v2, s22, 0
	v_mbcnt_hi_u32_b32 v2, s23, v2
	v_cmp_eq_u32_e32 vcc, 0, v2
	s_and_saveexec_b64 s[24:25], vcc
	s_cbranch_execz .LBB5_988
; %bb.987:
	s_bcnt1_i32_b64 s15, s[22:23]
	v_mov_b32_e32 v2, s15
	s_waitcnt vmcnt(0)
	global_atomic_add_x2 v[0:1], v[2:3], off offset:8
.LBB5_988:
	s_or_b64 exec, exec, s[24:25]
	s_waitcnt vmcnt(0)
	global_load_dwordx2 v[2:3], v[0:1], off offset:16
	s_waitcnt vmcnt(0)
	v_cmp_eq_u64_e32 vcc, 0, v[2:3]
	s_cbranch_vccnz .LBB5_990
; %bb.989:
	global_load_dword v0, v[0:1], off offset:24
	v_mov_b32_e32 v1, 0
	s_waitcnt vmcnt(0)
	global_store_dwordx2 v[2:3], v[0:1], off
	v_and_b32_e32 v0, 0xffffff, v0
	v_readfirstlane_b32 m0, v0
	s_sendmsg sendmsg(MSG_INTERRUPT)
.LBB5_990:
	s_or_b64 exec, exec, s[20:21]
	s_branch .LBB5_994
.LBB5_991:                              ;   in Loop: Header=BB5_994 Depth=1
	s_or_b64 exec, exec, s[20:21]
	v_readfirstlane_b32 s15, v0
	s_cmp_eq_u32 s15, 0
	s_cbranch_scc1 .LBB5_993
; %bb.992:                              ;   in Loop: Header=BB5_994 Depth=1
	s_sleep 1
	s_cbranch_execnz .LBB5_994
	s_branch .LBB5_996
.LBB5_993:
	s_branch .LBB5_996
.LBB5_994:                              ; =>This Inner Loop Header: Depth=1
	v_mov_b32_e32 v0, 1
	s_and_saveexec_b64 s[20:21], s[4:5]
	s_cbranch_execz .LBB5_991
; %bb.995:                              ;   in Loop: Header=BB5_994 Depth=1
	global_load_dword v0, v[10:11], off offset:20 glc
	s_waitcnt vmcnt(0)
	buffer_wbinvl1_vol
	v_and_b32_e32 v0, 1, v0
	s_branch .LBB5_991
.LBB5_996:
	s_and_saveexec_b64 s[20:21], s[4:5]
	s_cbranch_execz .LBB5_999
; %bb.997:
	v_mov_b32_e32 v6, 0
	global_load_dwordx2 v[2:3], v6, s[6:7] offset:40
	global_load_dwordx2 v[7:8], v6, s[6:7] offset:24 glc
	global_load_dwordx2 v[4:5], v6, s[6:7]
	v_mov_b32_e32 v1, s19
	s_mov_b64 s[4:5], 0
	s_waitcnt vmcnt(2)
	v_add_co_u32_e32 v9, vcc, 1, v2
	v_addc_co_u32_e32 v10, vcc, 0, v3, vcc
	v_add_co_u32_e32 v0, vcc, s18, v9
	v_addc_co_u32_e32 v1, vcc, v10, v1, vcc
	v_cmp_eq_u64_e32 vcc, 0, v[0:1]
	v_cndmask_b32_e32 v1, v1, v10, vcc
	v_cndmask_b32_e32 v0, v0, v9, vcc
	v_and_b32_e32 v3, v1, v3
	v_and_b32_e32 v2, v0, v2
	v_mul_lo_u32 v3, v3, 24
	v_mul_hi_u32 v9, v2, 24
	v_mul_lo_u32 v10, v2, 24
	s_waitcnt vmcnt(1)
	v_mov_b32_e32 v2, v7
	v_add_u32_e32 v3, v9, v3
	s_waitcnt vmcnt(0)
	v_add_co_u32_e32 v4, vcc, v4, v10
	v_addc_co_u32_e32 v5, vcc, v5, v3, vcc
	global_store_dwordx2 v[4:5], v[7:8], off
	v_mov_b32_e32 v3, v8
	s_waitcnt vmcnt(0)
	global_atomic_cmpswap_x2 v[2:3], v6, v[0:3], s[6:7] offset:24 glc
	s_waitcnt vmcnt(0)
	v_cmp_ne_u64_e32 vcc, v[2:3], v[7:8]
	s_and_b64 exec, exec, vcc
	s_cbranch_execz .LBB5_999
.LBB5_998:                              ; =>This Inner Loop Header: Depth=1
	s_sleep 1
	global_store_dwordx2 v[4:5], v[2:3], off
	s_waitcnt vmcnt(0)
	global_atomic_cmpswap_x2 v[7:8], v6, v[0:3], s[6:7] offset:24 glc
	s_waitcnt vmcnt(0)
	v_cmp_eq_u64_e32 vcc, v[7:8], v[2:3]
	v_mov_b32_e32 v2, v7
	s_or_b64 s[4:5], vcc, s[4:5]
	v_mov_b32_e32 v3, v8
	s_andn2_b64 exec, exec, s[4:5]
	s_cbranch_execnz .LBB5_998
.LBB5_999:
	s_or_b64 exec, exec, s[20:21]
	v_readfirstlane_b32 s4, v32
	v_mov_b32_e32 v5, 0
	v_mov_b32_e32 v6, 0
	v_cmp_eq_u32_e64 s[4:5], s4, v32
	s_and_saveexec_b64 s[18:19], s[4:5]
	s_cbranch_execz .LBB5_1005
; %bb.1000:
	v_mov_b32_e32 v0, 0
	global_load_dwordx2 v[3:4], v0, s[6:7] offset:24 glc
	s_waitcnt vmcnt(0)
	buffer_wbinvl1_vol
	global_load_dwordx2 v[1:2], v0, s[6:7] offset:40
	global_load_dwordx2 v[5:6], v0, s[6:7]
	s_waitcnt vmcnt(1)
	v_and_b32_e32 v1, v1, v3
	v_and_b32_e32 v2, v2, v4
	v_mul_lo_u32 v2, v2, 24
	v_mul_hi_u32 v7, v1, 24
	v_mul_lo_u32 v1, v1, 24
	v_add_u32_e32 v2, v7, v2
	s_waitcnt vmcnt(0)
	v_add_co_u32_e32 v1, vcc, v5, v1
	v_addc_co_u32_e32 v2, vcc, v6, v2, vcc
	global_load_dwordx2 v[1:2], v[1:2], off glc
	s_waitcnt vmcnt(0)
	global_atomic_cmpswap_x2 v[5:6], v0, v[1:4], s[6:7] offset:24 glc
	s_waitcnt vmcnt(0)
	buffer_wbinvl1_vol
	v_cmp_ne_u64_e32 vcc, v[5:6], v[3:4]
	s_and_saveexec_b64 s[20:21], vcc
	s_cbranch_execz .LBB5_1004
; %bb.1001:
	s_mov_b64 s[22:23], 0
.LBB5_1002:                             ; =>This Inner Loop Header: Depth=1
	s_sleep 1
	global_load_dwordx2 v[1:2], v0, s[6:7] offset:40
	global_load_dwordx2 v[7:8], v0, s[6:7]
	v_mov_b32_e32 v3, v5
	v_mov_b32_e32 v4, v6
	s_waitcnt vmcnt(1)
	v_and_b32_e32 v1, v1, v3
	s_waitcnt vmcnt(0)
	v_mad_u64_u32 v[5:6], s[24:25], v1, 24, v[7:8]
	v_and_b32_e32 v2, v2, v4
	v_mov_b32_e32 v1, v6
	v_mad_u64_u32 v[1:2], s[24:25], v2, 24, v[1:2]
	v_mov_b32_e32 v6, v1
	global_load_dwordx2 v[1:2], v[5:6], off glc
	s_waitcnt vmcnt(0)
	global_atomic_cmpswap_x2 v[5:6], v0, v[1:4], s[6:7] offset:24 glc
	s_waitcnt vmcnt(0)
	buffer_wbinvl1_vol
	v_cmp_eq_u64_e32 vcc, v[5:6], v[3:4]
	s_or_b64 s[22:23], vcc, s[22:23]
	s_andn2_b64 exec, exec, s[22:23]
	s_cbranch_execnz .LBB5_1002
; %bb.1003:
	s_or_b64 exec, exec, s[22:23]
.LBB5_1004:
	s_or_b64 exec, exec, s[20:21]
.LBB5_1005:
	s_or_b64 exec, exec, s[18:19]
	v_mov_b32_e32 v4, 0
	global_load_dwordx2 v[7:8], v4, s[6:7] offset:40
	global_load_dwordx4 v[0:3], v4, s[6:7]
	v_readfirstlane_b32 s18, v5
	v_readfirstlane_b32 s19, v6
	s_mov_b64 s[20:21], exec
	s_waitcnt vmcnt(1)
	v_readfirstlane_b32 s22, v7
	v_readfirstlane_b32 s23, v8
	s_and_b64 s[22:23], s[18:19], s[22:23]
	s_mul_i32 s15, s23, 24
	s_mul_hi_u32 s24, s22, 24
	s_mul_i32 s25, s22, 24
	s_add_i32 s15, s24, s15
	v_mov_b32_e32 v5, s15
	s_waitcnt vmcnt(0)
	v_add_co_u32_e32 v7, vcc, s25, v0
	v_addc_co_u32_e32 v8, vcc, v1, v5, vcc
	s_and_saveexec_b64 s[24:25], s[4:5]
	s_cbranch_execz .LBB5_1007
; %bb.1006:
	v_mov_b32_e32 v9, s20
	v_mov_b32_e32 v10, s21
	;; [unrolled: 1-line block ×4, first 2 shown]
	global_store_dwordx4 v[7:8], v[9:12], off offset:8
.LBB5_1007:
	s_or_b64 exec, exec, s[24:25]
	s_lshl_b64 s[20:21], s[22:23], 12
	v_mov_b32_e32 v5, s21
	v_add_co_u32_e32 v2, vcc, s20, v2
	v_addc_co_u32_e32 v11, vcc, v3, v5, vcc
	s_mov_b32 s20, 0
	v_mov_b32_e32 v3, 33
	v_mov_b32_e32 v5, v4
	;; [unrolled: 1-line block ×3, first 2 shown]
	v_readfirstlane_b32 s24, v2
	v_readfirstlane_b32 s25, v11
	v_add_co_u32_e32 v9, vcc, v2, v31
	s_mov_b32 s21, s20
	s_mov_b32 s22, s20
	;; [unrolled: 1-line block ×3, first 2 shown]
	s_nop 0
	global_store_dwordx4 v31, v[3:6], s[24:25]
	v_mov_b32_e32 v2, s20
	v_addc_co_u32_e32 v10, vcc, 0, v11, vcc
	v_mov_b32_e32 v3, s21
	v_mov_b32_e32 v4, s22
	;; [unrolled: 1-line block ×3, first 2 shown]
	global_store_dwordx4 v31, v[2:5], s[24:25] offset:16
	global_store_dwordx4 v31, v[2:5], s[24:25] offset:32
	;; [unrolled: 1-line block ×3, first 2 shown]
	s_and_saveexec_b64 s[20:21], s[4:5]
	s_cbranch_execz .LBB5_1015
; %bb.1008:
	v_mov_b32_e32 v6, 0
	global_load_dwordx2 v[13:14], v6, s[6:7] offset:32 glc
	global_load_dwordx2 v[2:3], v6, s[6:7] offset:40
	v_mov_b32_e32 v11, s18
	v_mov_b32_e32 v12, s19
	s_waitcnt vmcnt(0)
	v_readfirstlane_b32 s22, v2
	v_readfirstlane_b32 s23, v3
	s_and_b64 s[22:23], s[22:23], s[18:19]
	s_mul_i32 s15, s23, 24
	s_mul_hi_u32 s23, s22, 24
	s_mul_i32 s22, s22, 24
	s_add_i32 s15, s23, s15
	v_mov_b32_e32 v2, s15
	v_add_co_u32_e32 v4, vcc, s22, v0
	v_addc_co_u32_e32 v5, vcc, v1, v2, vcc
	global_store_dwordx2 v[4:5], v[13:14], off
	s_waitcnt vmcnt(0)
	global_atomic_cmpswap_x2 v[2:3], v6, v[11:14], s[6:7] offset:32 glc
	s_waitcnt vmcnt(0)
	v_cmp_ne_u64_e32 vcc, v[2:3], v[13:14]
	s_and_saveexec_b64 s[22:23], vcc
	s_cbranch_execz .LBB5_1011
; %bb.1009:
	s_mov_b64 s[24:25], 0
.LBB5_1010:                             ; =>This Inner Loop Header: Depth=1
	s_sleep 1
	global_store_dwordx2 v[4:5], v[2:3], off
	v_mov_b32_e32 v0, s18
	v_mov_b32_e32 v1, s19
	s_waitcnt vmcnt(0)
	global_atomic_cmpswap_x2 v[0:1], v6, v[0:3], s[6:7] offset:32 glc
	s_waitcnt vmcnt(0)
	v_cmp_eq_u64_e32 vcc, v[0:1], v[2:3]
	v_mov_b32_e32 v3, v1
	s_or_b64 s[24:25], vcc, s[24:25]
	v_mov_b32_e32 v2, v0
	s_andn2_b64 exec, exec, s[24:25]
	s_cbranch_execnz .LBB5_1010
.LBB5_1011:
	s_or_b64 exec, exec, s[22:23]
	v_mov_b32_e32 v3, 0
	global_load_dwordx2 v[0:1], v3, s[6:7] offset:16
	s_mov_b64 s[22:23], exec
	v_mbcnt_lo_u32_b32 v2, s22, 0
	v_mbcnt_hi_u32_b32 v2, s23, v2
	v_cmp_eq_u32_e32 vcc, 0, v2
	s_and_saveexec_b64 s[24:25], vcc
	s_cbranch_execz .LBB5_1013
; %bb.1012:
	s_bcnt1_i32_b64 s15, s[22:23]
	v_mov_b32_e32 v2, s15
	s_waitcnt vmcnt(0)
	global_atomic_add_x2 v[0:1], v[2:3], off offset:8
.LBB5_1013:
	s_or_b64 exec, exec, s[24:25]
	s_waitcnt vmcnt(0)
	global_load_dwordx2 v[2:3], v[0:1], off offset:16
	s_waitcnt vmcnt(0)
	v_cmp_eq_u64_e32 vcc, 0, v[2:3]
	s_cbranch_vccnz .LBB5_1015
; %bb.1014:
	global_load_dword v0, v[0:1], off offset:24
	v_mov_b32_e32 v1, 0
	s_waitcnt vmcnt(0)
	global_store_dwordx2 v[2:3], v[0:1], off
	v_and_b32_e32 v0, 0xffffff, v0
	v_readfirstlane_b32 m0, v0
	s_sendmsg sendmsg(MSG_INTERRUPT)
.LBB5_1015:
	s_or_b64 exec, exec, s[20:21]
	s_branch .LBB5_1019
.LBB5_1016:                             ;   in Loop: Header=BB5_1019 Depth=1
	s_or_b64 exec, exec, s[20:21]
	v_readfirstlane_b32 s15, v0
	s_cmp_eq_u32 s15, 0
	s_cbranch_scc1 .LBB5_1018
; %bb.1017:                             ;   in Loop: Header=BB5_1019 Depth=1
	s_sleep 1
	s_cbranch_execnz .LBB5_1019
	s_branch .LBB5_1021
.LBB5_1018:
	s_branch .LBB5_1021
.LBB5_1019:                             ; =>This Inner Loop Header: Depth=1
	v_mov_b32_e32 v0, 1
	s_and_saveexec_b64 s[20:21], s[4:5]
	s_cbranch_execz .LBB5_1016
; %bb.1020:                             ;   in Loop: Header=BB5_1019 Depth=1
	global_load_dword v0, v[7:8], off offset:20 glc
	s_waitcnt vmcnt(0)
	buffer_wbinvl1_vol
	v_and_b32_e32 v0, 1, v0
	s_branch .LBB5_1016
.LBB5_1021:
	global_load_dwordx2 v[0:1], v[9:10], off
	s_and_saveexec_b64 s[20:21], s[4:5]
	s_cbranch_execz .LBB5_1024
; %bb.1022:
	v_mov_b32_e32 v8, 0
	global_load_dwordx2 v[4:5], v8, s[6:7] offset:40
	global_load_dwordx2 v[9:10], v8, s[6:7] offset:24 glc
	global_load_dwordx2 v[6:7], v8, s[6:7]
	v_mov_b32_e32 v3, s19
	s_mov_b64 s[4:5], 0
	s_waitcnt vmcnt(2)
	v_add_co_u32_e32 v11, vcc, 1, v4
	v_addc_co_u32_e32 v12, vcc, 0, v5, vcc
	v_add_co_u32_e32 v2, vcc, s18, v11
	v_addc_co_u32_e32 v3, vcc, v12, v3, vcc
	v_cmp_eq_u64_e32 vcc, 0, v[2:3]
	v_cndmask_b32_e32 v3, v3, v12, vcc
	v_cndmask_b32_e32 v2, v2, v11, vcc
	v_and_b32_e32 v5, v3, v5
	v_and_b32_e32 v4, v2, v4
	v_mul_lo_u32 v5, v5, 24
	v_mul_hi_u32 v11, v4, 24
	v_mul_lo_u32 v12, v4, 24
	s_waitcnt vmcnt(1)
	v_mov_b32_e32 v4, v9
	v_add_u32_e32 v5, v11, v5
	s_waitcnt vmcnt(0)
	v_add_co_u32_e32 v6, vcc, v6, v12
	v_addc_co_u32_e32 v7, vcc, v7, v5, vcc
	global_store_dwordx2 v[6:7], v[9:10], off
	v_mov_b32_e32 v5, v10
	s_waitcnt vmcnt(0)
	global_atomic_cmpswap_x2 v[4:5], v8, v[2:5], s[6:7] offset:24 glc
	s_waitcnt vmcnt(0)
	v_cmp_ne_u64_e32 vcc, v[4:5], v[9:10]
	s_and_b64 exec, exec, vcc
	s_cbranch_execz .LBB5_1024
.LBB5_1023:                             ; =>This Inner Loop Header: Depth=1
	s_sleep 1
	global_store_dwordx2 v[6:7], v[4:5], off
	s_waitcnt vmcnt(0)
	global_atomic_cmpswap_x2 v[9:10], v8, v[2:5], s[6:7] offset:24 glc
	s_waitcnt vmcnt(0)
	v_cmp_eq_u64_e32 vcc, v[9:10], v[4:5]
	v_mov_b32_e32 v4, v9
	s_or_b64 s[4:5], vcc, s[4:5]
	v_mov_b32_e32 v5, v10
	s_andn2_b64 exec, exec, s[4:5]
	s_cbranch_execnz .LBB5_1023
.LBB5_1024:
	s_or_b64 exec, exec, s[20:21]
	s_and_b64 vcc, exec, s[16:17]
	s_cbranch_vccz .LBB5_1109
; %bb.1025:
	s_waitcnt vmcnt(0)
	v_and_b32_e32 v33, 2, v0
	v_mov_b32_e32 v28, 0
	v_and_b32_e32 v2, -3, v0
	v_mov_b32_e32 v3, v1
	s_mov_b64 s[20:21], 3
	v_mov_b32_e32 v6, 2
	v_mov_b32_e32 v7, 1
	s_getpc_b64 s[18:19]
	s_add_u32 s18, s18, .str.6@rel32@lo+4
	s_addc_u32 s19, s19, .str.6@rel32@hi+12
	s_branch .LBB5_1027
.LBB5_1026:                             ;   in Loop: Header=BB5_1027 Depth=1
	s_or_b64 exec, exec, s[26:27]
	s_sub_u32 s20, s20, s22
	s_subb_u32 s21, s21, s23
	s_add_u32 s18, s18, s22
	s_addc_u32 s19, s19, s23
	s_cmp_lg_u64 s[20:21], 0
	s_cbranch_scc0 .LBB5_1108
.LBB5_1027:                             ; =>This Loop Header: Depth=1
                                        ;     Child Loop BB5_1030 Depth 2
                                        ;     Child Loop BB5_1037 Depth 2
	;; [unrolled: 1-line block ×11, first 2 shown]
	v_cmp_lt_u64_e64 s[4:5], s[20:21], 56
	v_cmp_gt_u64_e64 s[24:25], s[20:21], 7
	s_and_b64 s[4:5], s[4:5], exec
	s_cselect_b32 s23, s21, 0
	s_cselect_b32 s22, s20, 56
	s_and_b64 vcc, exec, s[24:25]
	s_cbranch_vccnz .LBB5_1032
; %bb.1028:                             ;   in Loop: Header=BB5_1027 Depth=1
	v_mov_b32_e32 v10, 0
	s_cmp_eq_u64 s[20:21], 0
	v_mov_b32_e32 v11, 0
	s_mov_b64 s[4:5], 0
	s_cbranch_scc1 .LBB5_1031
; %bb.1029:                             ;   in Loop: Header=BB5_1027 Depth=1
	v_mov_b32_e32 v10, 0
	s_lshl_b64 s[24:25], s[22:23], 3
	s_mov_b64 s[26:27], 0
	v_mov_b32_e32 v11, 0
	s_mov_b64 s[28:29], s[18:19]
.LBB5_1030:                             ;   Parent Loop BB5_1027 Depth=1
                                        ; =>  This Inner Loop Header: Depth=2
	global_load_ubyte v4, v28, s[28:29]
	s_waitcnt vmcnt(0)
	v_and_b32_e32 v27, 0xffff, v4
	v_lshlrev_b64 v[4:5], s26, v[27:28]
	s_add_u32 s26, s26, 8
	s_addc_u32 s27, s27, 0
	s_add_u32 s28, s28, 1
	s_addc_u32 s29, s29, 0
	v_or_b32_e32 v10, v4, v10
	s_cmp_lg_u32 s24, s26
	v_or_b32_e32 v11, v5, v11
	s_cbranch_scc1 .LBB5_1030
.LBB5_1031:                             ;   in Loop: Header=BB5_1027 Depth=1
	s_mov_b32 s15, 0
	s_andn2_b64 vcc, exec, s[4:5]
	s_mov_b64 s[4:5], s[18:19]
	s_cbranch_vccz .LBB5_1033
	s_branch .LBB5_1034
.LBB5_1032:                             ;   in Loop: Header=BB5_1027 Depth=1
                                        ; implicit-def: $vgpr10_vgpr11
                                        ; implicit-def: $sgpr15
	s_mov_b64 s[4:5], s[18:19]
.LBB5_1033:                             ;   in Loop: Header=BB5_1027 Depth=1
	global_load_dwordx2 v[10:11], v28, s[18:19]
	s_add_i32 s15, s22, -8
	s_add_u32 s4, s18, 8
	s_addc_u32 s5, s19, 0
.LBB5_1034:                             ;   in Loop: Header=BB5_1027 Depth=1
	s_cmp_gt_u32 s15, 7
	s_cbranch_scc1 .LBB5_1038
; %bb.1035:                             ;   in Loop: Header=BB5_1027 Depth=1
	s_cmp_eq_u32 s15, 0
	s_cbranch_scc1 .LBB5_1039
; %bb.1036:                             ;   in Loop: Header=BB5_1027 Depth=1
	v_mov_b32_e32 v12, 0
	s_mov_b64 s[24:25], 0
	v_mov_b32_e32 v13, 0
	s_mov_b64 s[26:27], 0
.LBB5_1037:                             ;   Parent Loop BB5_1027 Depth=1
                                        ; =>  This Inner Loop Header: Depth=2
	s_add_u32 s28, s4, s26
	s_addc_u32 s29, s5, s27
	global_load_ubyte v4, v28, s[28:29]
	s_add_u32 s26, s26, 1
	s_addc_u32 s27, s27, 0
	s_waitcnt vmcnt(0)
	v_and_b32_e32 v27, 0xffff, v4
	v_lshlrev_b64 v[4:5], s24, v[27:28]
	s_add_u32 s24, s24, 8
	s_addc_u32 s25, s25, 0
	v_or_b32_e32 v12, v4, v12
	s_cmp_lg_u32 s15, s26
	v_or_b32_e32 v13, v5, v13
	s_cbranch_scc1 .LBB5_1037
	s_branch .LBB5_1040
.LBB5_1038:                             ;   in Loop: Header=BB5_1027 Depth=1
                                        ; implicit-def: $vgpr12_vgpr13
                                        ; implicit-def: $sgpr28
	s_branch .LBB5_1041
.LBB5_1039:                             ;   in Loop: Header=BB5_1027 Depth=1
	v_mov_b32_e32 v12, 0
	v_mov_b32_e32 v13, 0
.LBB5_1040:                             ;   in Loop: Header=BB5_1027 Depth=1
	s_mov_b32 s28, 0
	s_cbranch_execnz .LBB5_1042
.LBB5_1041:                             ;   in Loop: Header=BB5_1027 Depth=1
	global_load_dwordx2 v[12:13], v28, s[4:5]
	s_add_i32 s28, s15, -8
	s_add_u32 s4, s4, 8
	s_addc_u32 s5, s5, 0
.LBB5_1042:                             ;   in Loop: Header=BB5_1027 Depth=1
	s_cmp_gt_u32 s28, 7
	s_cbranch_scc1 .LBB5_1046
; %bb.1043:                             ;   in Loop: Header=BB5_1027 Depth=1
	s_cmp_eq_u32 s28, 0
	s_cbranch_scc1 .LBB5_1047
; %bb.1044:                             ;   in Loop: Header=BB5_1027 Depth=1
	v_mov_b32_e32 v14, 0
	s_mov_b64 s[24:25], 0
	v_mov_b32_e32 v15, 0
	s_mov_b64 s[26:27], 0
.LBB5_1045:                             ;   Parent Loop BB5_1027 Depth=1
                                        ; =>  This Inner Loop Header: Depth=2
	s_add_u32 vcc_lo, s4, s26
	s_addc_u32 vcc_hi, s5, s27
	global_load_ubyte v4, v28, vcc
	s_add_u32 s26, s26, 1
	s_addc_u32 s27, s27, 0
	s_waitcnt vmcnt(0)
	v_and_b32_e32 v27, 0xffff, v4
	v_lshlrev_b64 v[4:5], s24, v[27:28]
	s_add_u32 s24, s24, 8
	s_addc_u32 s25, s25, 0
	v_or_b32_e32 v14, v4, v14
	s_cmp_lg_u32 s28, s26
	v_or_b32_e32 v15, v5, v15
	s_cbranch_scc1 .LBB5_1045
	s_branch .LBB5_1048
.LBB5_1046:                             ;   in Loop: Header=BB5_1027 Depth=1
                                        ; implicit-def: $sgpr15
	s_branch .LBB5_1049
.LBB5_1047:                             ;   in Loop: Header=BB5_1027 Depth=1
	v_mov_b32_e32 v14, 0
	v_mov_b32_e32 v15, 0
.LBB5_1048:                             ;   in Loop: Header=BB5_1027 Depth=1
	s_mov_b32 s15, 0
	s_cbranch_execnz .LBB5_1050
.LBB5_1049:                             ;   in Loop: Header=BB5_1027 Depth=1
	global_load_dwordx2 v[14:15], v28, s[4:5]
	s_add_i32 s15, s28, -8
	s_add_u32 s4, s4, 8
	s_addc_u32 s5, s5, 0
.LBB5_1050:                             ;   in Loop: Header=BB5_1027 Depth=1
	s_cmp_gt_u32 s15, 7
	s_cbranch_scc1 .LBB5_1054
; %bb.1051:                             ;   in Loop: Header=BB5_1027 Depth=1
	s_cmp_eq_u32 s15, 0
	s_cbranch_scc1 .LBB5_1055
; %bb.1052:                             ;   in Loop: Header=BB5_1027 Depth=1
	v_mov_b32_e32 v16, 0
	s_mov_b64 s[24:25], 0
	v_mov_b32_e32 v17, 0
	s_mov_b64 s[26:27], 0
.LBB5_1053:                             ;   Parent Loop BB5_1027 Depth=1
                                        ; =>  This Inner Loop Header: Depth=2
	s_add_u32 s28, s4, s26
	s_addc_u32 s29, s5, s27
	global_load_ubyte v4, v28, s[28:29]
	s_add_u32 s26, s26, 1
	s_addc_u32 s27, s27, 0
	s_waitcnt vmcnt(0)
	v_and_b32_e32 v27, 0xffff, v4
	v_lshlrev_b64 v[4:5], s24, v[27:28]
	s_add_u32 s24, s24, 8
	s_addc_u32 s25, s25, 0
	v_or_b32_e32 v16, v4, v16
	s_cmp_lg_u32 s15, s26
	v_or_b32_e32 v17, v5, v17
	s_cbranch_scc1 .LBB5_1053
	s_branch .LBB5_1056
.LBB5_1054:                             ;   in Loop: Header=BB5_1027 Depth=1
                                        ; implicit-def: $vgpr16_vgpr17
                                        ; implicit-def: $sgpr28
	s_branch .LBB5_1057
.LBB5_1055:                             ;   in Loop: Header=BB5_1027 Depth=1
	v_mov_b32_e32 v16, 0
	v_mov_b32_e32 v17, 0
.LBB5_1056:                             ;   in Loop: Header=BB5_1027 Depth=1
	s_mov_b32 s28, 0
	s_cbranch_execnz .LBB5_1058
.LBB5_1057:                             ;   in Loop: Header=BB5_1027 Depth=1
	global_load_dwordx2 v[16:17], v28, s[4:5]
	s_add_i32 s28, s15, -8
	s_add_u32 s4, s4, 8
	s_addc_u32 s5, s5, 0
.LBB5_1058:                             ;   in Loop: Header=BB5_1027 Depth=1
	s_cmp_gt_u32 s28, 7
	s_cbranch_scc1 .LBB5_1062
; %bb.1059:                             ;   in Loop: Header=BB5_1027 Depth=1
	s_cmp_eq_u32 s28, 0
	s_cbranch_scc1 .LBB5_1063
; %bb.1060:                             ;   in Loop: Header=BB5_1027 Depth=1
	v_mov_b32_e32 v18, 0
	s_mov_b64 s[24:25], 0
	v_mov_b32_e32 v19, 0
	s_mov_b64 s[26:27], 0
.LBB5_1061:                             ;   Parent Loop BB5_1027 Depth=1
                                        ; =>  This Inner Loop Header: Depth=2
	s_add_u32 vcc_lo, s4, s26
	s_addc_u32 vcc_hi, s5, s27
	global_load_ubyte v4, v28, vcc
	s_add_u32 s26, s26, 1
	s_addc_u32 s27, s27, 0
	s_waitcnt vmcnt(0)
	v_and_b32_e32 v27, 0xffff, v4
	v_lshlrev_b64 v[4:5], s24, v[27:28]
	s_add_u32 s24, s24, 8
	s_addc_u32 s25, s25, 0
	v_or_b32_e32 v18, v4, v18
	s_cmp_lg_u32 s28, s26
	v_or_b32_e32 v19, v5, v19
	s_cbranch_scc1 .LBB5_1061
	s_branch .LBB5_1064
.LBB5_1062:                             ;   in Loop: Header=BB5_1027 Depth=1
                                        ; implicit-def: $sgpr15
	s_branch .LBB5_1065
.LBB5_1063:                             ;   in Loop: Header=BB5_1027 Depth=1
	v_mov_b32_e32 v18, 0
	v_mov_b32_e32 v19, 0
.LBB5_1064:                             ;   in Loop: Header=BB5_1027 Depth=1
	s_mov_b32 s15, 0
	s_cbranch_execnz .LBB5_1066
.LBB5_1065:                             ;   in Loop: Header=BB5_1027 Depth=1
	global_load_dwordx2 v[18:19], v28, s[4:5]
	s_add_i32 s15, s28, -8
	s_add_u32 s4, s4, 8
	s_addc_u32 s5, s5, 0
.LBB5_1066:                             ;   in Loop: Header=BB5_1027 Depth=1
	s_cmp_gt_u32 s15, 7
	s_cbranch_scc1 .LBB5_1070
; %bb.1067:                             ;   in Loop: Header=BB5_1027 Depth=1
	s_cmp_eq_u32 s15, 0
	s_cbranch_scc1 .LBB5_1071
; %bb.1068:                             ;   in Loop: Header=BB5_1027 Depth=1
	v_mov_b32_e32 v20, 0
	s_mov_b64 s[24:25], 0
	v_mov_b32_e32 v21, 0
	s_mov_b64 s[26:27], 0
.LBB5_1069:                             ;   Parent Loop BB5_1027 Depth=1
                                        ; =>  This Inner Loop Header: Depth=2
	s_add_u32 s28, s4, s26
	s_addc_u32 s29, s5, s27
	global_load_ubyte v4, v28, s[28:29]
	s_add_u32 s26, s26, 1
	s_addc_u32 s27, s27, 0
	s_waitcnt vmcnt(0)
	v_and_b32_e32 v27, 0xffff, v4
	v_lshlrev_b64 v[4:5], s24, v[27:28]
	s_add_u32 s24, s24, 8
	s_addc_u32 s25, s25, 0
	v_or_b32_e32 v20, v4, v20
	s_cmp_lg_u32 s15, s26
	v_or_b32_e32 v21, v5, v21
	s_cbranch_scc1 .LBB5_1069
	s_branch .LBB5_1072
.LBB5_1070:                             ;   in Loop: Header=BB5_1027 Depth=1
                                        ; implicit-def: $vgpr20_vgpr21
                                        ; implicit-def: $sgpr28
	s_branch .LBB5_1073
.LBB5_1071:                             ;   in Loop: Header=BB5_1027 Depth=1
	v_mov_b32_e32 v20, 0
	v_mov_b32_e32 v21, 0
.LBB5_1072:                             ;   in Loop: Header=BB5_1027 Depth=1
	s_mov_b32 s28, 0
	s_cbranch_execnz .LBB5_1074
.LBB5_1073:                             ;   in Loop: Header=BB5_1027 Depth=1
	global_load_dwordx2 v[20:21], v28, s[4:5]
	s_add_i32 s28, s15, -8
	s_add_u32 s4, s4, 8
	s_addc_u32 s5, s5, 0
.LBB5_1074:                             ;   in Loop: Header=BB5_1027 Depth=1
	s_cmp_gt_u32 s28, 7
	s_cbranch_scc1 .LBB5_1078
; %bb.1075:                             ;   in Loop: Header=BB5_1027 Depth=1
	s_cmp_eq_u32 s28, 0
	s_cbranch_scc1 .LBB5_1079
; %bb.1076:                             ;   in Loop: Header=BB5_1027 Depth=1
	v_mov_b32_e32 v22, 0
	s_mov_b64 s[24:25], 0
	v_mov_b32_e32 v23, 0
	s_mov_b64 s[26:27], s[4:5]
.LBB5_1077:                             ;   Parent Loop BB5_1027 Depth=1
                                        ; =>  This Inner Loop Header: Depth=2
	global_load_ubyte v4, v28, s[26:27]
	s_add_i32 s28, s28, -1
	s_waitcnt vmcnt(0)
	v_and_b32_e32 v27, 0xffff, v4
	v_lshlrev_b64 v[4:5], s24, v[27:28]
	s_add_u32 s24, s24, 8
	s_addc_u32 s25, s25, 0
	s_add_u32 s26, s26, 1
	s_addc_u32 s27, s27, 0
	v_or_b32_e32 v22, v4, v22
	s_cmp_lg_u32 s28, 0
	v_or_b32_e32 v23, v5, v23
	s_cbranch_scc1 .LBB5_1077
	s_branch .LBB5_1080
.LBB5_1078:                             ;   in Loop: Header=BB5_1027 Depth=1
	s_branch .LBB5_1081
.LBB5_1079:                             ;   in Loop: Header=BB5_1027 Depth=1
	v_mov_b32_e32 v22, 0
	v_mov_b32_e32 v23, 0
.LBB5_1080:                             ;   in Loop: Header=BB5_1027 Depth=1
	s_cbranch_execnz .LBB5_1082
.LBB5_1081:                             ;   in Loop: Header=BB5_1027 Depth=1
	global_load_dwordx2 v[22:23], v28, s[4:5]
.LBB5_1082:                             ;   in Loop: Header=BB5_1027 Depth=1
	v_readfirstlane_b32 s4, v32
	s_waitcnt vmcnt(0)
	v_mov_b32_e32 v4, 0
	v_mov_b32_e32 v5, 0
	v_cmp_eq_u32_e64 s[4:5], s4, v32
	s_and_saveexec_b64 s[24:25], s[4:5]
	s_cbranch_execz .LBB5_1088
; %bb.1083:                             ;   in Loop: Header=BB5_1027 Depth=1
	global_load_dwordx2 v[26:27], v28, s[6:7] offset:24 glc
	s_waitcnt vmcnt(0)
	buffer_wbinvl1_vol
	global_load_dwordx2 v[4:5], v28, s[6:7] offset:40
	global_load_dwordx2 v[8:9], v28, s[6:7]
	s_waitcnt vmcnt(1)
	v_and_b32_e32 v4, v4, v26
	v_and_b32_e32 v5, v5, v27
	v_mul_lo_u32 v5, v5, 24
	v_mul_hi_u32 v24, v4, 24
	v_mul_lo_u32 v4, v4, 24
	v_add_u32_e32 v5, v24, v5
	s_waitcnt vmcnt(0)
	v_add_co_u32_e32 v4, vcc, v8, v4
	v_addc_co_u32_e32 v5, vcc, v9, v5, vcc
	global_load_dwordx2 v[24:25], v[4:5], off glc
	s_waitcnt vmcnt(0)
	global_atomic_cmpswap_x2 v[4:5], v28, v[24:27], s[6:7] offset:24 glc
	s_waitcnt vmcnt(0)
	buffer_wbinvl1_vol
	v_cmp_ne_u64_e32 vcc, v[4:5], v[26:27]
	s_and_saveexec_b64 s[26:27], vcc
	s_cbranch_execz .LBB5_1087
; %bb.1084:                             ;   in Loop: Header=BB5_1027 Depth=1
	s_mov_b64 s[28:29], 0
.LBB5_1085:                             ;   Parent Loop BB5_1027 Depth=1
                                        ; =>  This Inner Loop Header: Depth=2
	s_sleep 1
	global_load_dwordx2 v[8:9], v28, s[6:7] offset:40
	global_load_dwordx2 v[24:25], v28, s[6:7]
	v_mov_b32_e32 v27, v5
	v_mov_b32_e32 v26, v4
	s_waitcnt vmcnt(1)
	v_and_b32_e32 v4, v8, v26
	s_waitcnt vmcnt(0)
	v_mad_u64_u32 v[4:5], vcc, v4, 24, v[24:25]
	v_and_b32_e32 v8, v9, v27
	v_mad_u64_u32 v[8:9], vcc, v8, 24, v[5:6]
	v_mov_b32_e32 v5, v8
	global_load_dwordx2 v[24:25], v[4:5], off glc
	s_waitcnt vmcnt(0)
	global_atomic_cmpswap_x2 v[4:5], v28, v[24:27], s[6:7] offset:24 glc
	s_waitcnt vmcnt(0)
	buffer_wbinvl1_vol
	v_cmp_eq_u64_e32 vcc, v[4:5], v[26:27]
	s_or_b64 s[28:29], vcc, s[28:29]
	s_andn2_b64 exec, exec, s[28:29]
	s_cbranch_execnz .LBB5_1085
; %bb.1086:                             ;   in Loop: Header=BB5_1027 Depth=1
	s_or_b64 exec, exec, s[28:29]
.LBB5_1087:                             ;   in Loop: Header=BB5_1027 Depth=1
	s_or_b64 exec, exec, s[26:27]
.LBB5_1088:                             ;   in Loop: Header=BB5_1027 Depth=1
	s_or_b64 exec, exec, s[24:25]
	global_load_dwordx2 v[8:9], v28, s[6:7] offset:40
	global_load_dwordx4 v[24:27], v28, s[6:7]
	v_readfirstlane_b32 s24, v4
	v_readfirstlane_b32 s25, v5
	s_mov_b64 s[26:27], exec
	s_waitcnt vmcnt(1)
	v_readfirstlane_b32 s28, v8
	v_readfirstlane_b32 s29, v9
	s_and_b64 s[28:29], s[24:25], s[28:29]
	s_mul_i32 s15, s29, 24
	s_mul_hi_u32 vcc_lo, s28, 24
	s_mul_i32 vcc_hi, s28, 24
	s_add_i32 s15, vcc_lo, s15
	v_mov_b32_e32 v4, s15
	s_waitcnt vmcnt(0)
	v_add_co_u32_e32 v29, vcc, vcc_hi, v24
	v_addc_co_u32_e32 v30, vcc, v25, v4, vcc
	s_and_saveexec_b64 vcc, s[4:5]
	s_cbranch_execz .LBB5_1090
; %bb.1089:                             ;   in Loop: Header=BB5_1027 Depth=1
	v_mov_b32_e32 v4, s26
	v_mov_b32_e32 v5, s27
	global_store_dwordx4 v[29:30], v[4:7], off offset:8
.LBB5_1090:                             ;   in Loop: Header=BB5_1027 Depth=1
	s_or_b64 exec, exec, vcc
	s_lshl_b64 s[26:27], s[28:29], 12
	v_mov_b32_e32 v4, s27
	v_add_co_u32_e32 v26, vcc, s26, v26
	v_addc_co_u32_e32 v34, vcc, v27, v4, vcc
	v_cmp_gt_u64_e64 vcc, s[20:21], 56
	v_or_b32_e32 v5, v2, v33
	s_lshl_b32 s15, s22, 2
	v_cndmask_b32_e32 v2, v5, v2, vcc
	s_add_i32 s15, s15, 28
	v_or_b32_e32 v4, 0, v3
	s_and_b32 s15, s15, 0x1e0
	v_and_b32_e32 v2, 0xffffff1f, v2
	v_cndmask_b32_e32 v9, v4, v3, vcc
	v_or_b32_e32 v8, s15, v2
	v_readfirstlane_b32 s26, v26
	v_readfirstlane_b32 s27, v34
	s_nop 4
	global_store_dwordx4 v31, v[8:11], s[26:27]
	global_store_dwordx4 v31, v[12:15], s[26:27] offset:16
	global_store_dwordx4 v31, v[16:19], s[26:27] offset:32
	;; [unrolled: 1-line block ×3, first 2 shown]
	s_and_saveexec_b64 s[26:27], s[4:5]
	s_cbranch_execz .LBB5_1098
; %bb.1091:                             ;   in Loop: Header=BB5_1027 Depth=1
	global_load_dwordx2 v[12:13], v28, s[6:7] offset:32 glc
	global_load_dwordx2 v[2:3], v28, s[6:7] offset:40
	v_mov_b32_e32 v10, s24
	v_mov_b32_e32 v11, s25
	s_waitcnt vmcnt(0)
	v_readfirstlane_b32 s28, v2
	v_readfirstlane_b32 s29, v3
	s_and_b64 s[28:29], s[28:29], s[24:25]
	s_mul_i32 s15, s29, 24
	s_mul_hi_u32 s29, s28, 24
	s_mul_i32 s28, s28, 24
	s_add_i32 s15, s29, s15
	v_mov_b32_e32 v2, s15
	v_add_co_u32_e32 v8, vcc, s28, v24
	v_addc_co_u32_e32 v9, vcc, v25, v2, vcc
	global_store_dwordx2 v[8:9], v[12:13], off
	s_waitcnt vmcnt(0)
	global_atomic_cmpswap_x2 v[4:5], v28, v[10:13], s[6:7] offset:32 glc
	s_waitcnt vmcnt(0)
	v_cmp_ne_u64_e32 vcc, v[4:5], v[12:13]
	s_and_saveexec_b64 s[28:29], vcc
	s_cbranch_execz .LBB5_1094
; %bb.1092:                             ;   in Loop: Header=BB5_1027 Depth=1
	s_mov_b64 s[30:31], 0
.LBB5_1093:                             ;   Parent Loop BB5_1027 Depth=1
                                        ; =>  This Inner Loop Header: Depth=2
	s_sleep 1
	global_store_dwordx2 v[8:9], v[4:5], off
	v_mov_b32_e32 v2, s24
	v_mov_b32_e32 v3, s25
	s_waitcnt vmcnt(0)
	global_atomic_cmpswap_x2 v[2:3], v28, v[2:5], s[6:7] offset:32 glc
	s_waitcnt vmcnt(0)
	v_cmp_eq_u64_e32 vcc, v[2:3], v[4:5]
	v_mov_b32_e32 v5, v3
	s_or_b64 s[30:31], vcc, s[30:31]
	v_mov_b32_e32 v4, v2
	s_andn2_b64 exec, exec, s[30:31]
	s_cbranch_execnz .LBB5_1093
.LBB5_1094:                             ;   in Loop: Header=BB5_1027 Depth=1
	s_or_b64 exec, exec, s[28:29]
	global_load_dwordx2 v[2:3], v28, s[6:7] offset:16
	s_mov_b64 s[30:31], exec
	v_mbcnt_lo_u32_b32 v4, s30, 0
	v_mbcnt_hi_u32_b32 v4, s31, v4
	v_cmp_eq_u32_e32 vcc, 0, v4
	s_and_saveexec_b64 s[28:29], vcc
	s_cbranch_execz .LBB5_1096
; %bb.1095:                             ;   in Loop: Header=BB5_1027 Depth=1
	s_bcnt1_i32_b64 s15, s[30:31]
	v_mov_b32_e32 v27, s15
	s_waitcnt vmcnt(0)
	global_atomic_add_x2 v[2:3], v[27:28], off offset:8
.LBB5_1096:                             ;   in Loop: Header=BB5_1027 Depth=1
	s_or_b64 exec, exec, s[28:29]
	s_waitcnt vmcnt(0)
	global_load_dwordx2 v[4:5], v[2:3], off offset:16
	s_waitcnt vmcnt(0)
	v_cmp_eq_u64_e32 vcc, 0, v[4:5]
	s_cbranch_vccnz .LBB5_1098
; %bb.1097:                             ;   in Loop: Header=BB5_1027 Depth=1
	global_load_dword v27, v[2:3], off offset:24
	s_waitcnt vmcnt(0)
	v_and_b32_e32 v2, 0xffffff, v27
	v_readfirstlane_b32 m0, v2
	global_store_dwordx2 v[4:5], v[27:28], off
	s_sendmsg sendmsg(MSG_INTERRUPT)
.LBB5_1098:                             ;   in Loop: Header=BB5_1027 Depth=1
	s_or_b64 exec, exec, s[26:27]
	v_add_co_u32_e32 v2, vcc, v26, v31
	v_addc_co_u32_e32 v3, vcc, 0, v34, vcc
	s_branch .LBB5_1102
.LBB5_1099:                             ;   in Loop: Header=BB5_1102 Depth=2
	s_or_b64 exec, exec, s[26:27]
	v_readfirstlane_b32 s15, v4
	s_cmp_eq_u32 s15, 0
	s_cbranch_scc1 .LBB5_1101
; %bb.1100:                             ;   in Loop: Header=BB5_1102 Depth=2
	s_sleep 1
	s_cbranch_execnz .LBB5_1102
	s_branch .LBB5_1104
.LBB5_1101:                             ;   in Loop: Header=BB5_1027 Depth=1
	s_branch .LBB5_1104
.LBB5_1102:                             ;   Parent Loop BB5_1027 Depth=1
                                        ; =>  This Inner Loop Header: Depth=2
	v_mov_b32_e32 v4, 1
	s_and_saveexec_b64 s[26:27], s[4:5]
	s_cbranch_execz .LBB5_1099
; %bb.1103:                             ;   in Loop: Header=BB5_1102 Depth=2
	global_load_dword v4, v[29:30], off offset:20 glc
	s_waitcnt vmcnt(0)
	buffer_wbinvl1_vol
	v_and_b32_e32 v4, 1, v4
	s_branch .LBB5_1099
.LBB5_1104:                             ;   in Loop: Header=BB5_1027 Depth=1
	global_load_dwordx4 v[2:5], v[2:3], off
	s_and_saveexec_b64 s[26:27], s[4:5]
	s_cbranch_execz .LBB5_1026
; %bb.1105:                             ;   in Loop: Header=BB5_1027 Depth=1
	global_load_dwordx2 v[4:5], v28, s[6:7] offset:40
	global_load_dwordx2 v[12:13], v28, s[6:7] offset:24 glc
	global_load_dwordx2 v[14:15], v28, s[6:7]
	v_mov_b32_e32 v9, s25
	s_waitcnt vmcnt(2)
	v_add_co_u32_e32 v10, vcc, 1, v4
	v_addc_co_u32_e32 v11, vcc, 0, v5, vcc
	v_add_co_u32_e32 v8, vcc, s24, v10
	v_addc_co_u32_e32 v9, vcc, v11, v9, vcc
	v_cmp_eq_u64_e32 vcc, 0, v[8:9]
	v_cndmask_b32_e32 v9, v9, v11, vcc
	v_cndmask_b32_e32 v8, v8, v10, vcc
	v_and_b32_e32 v5, v9, v5
	v_and_b32_e32 v4, v8, v4
	v_mul_lo_u32 v5, v5, 24
	v_mul_hi_u32 v11, v4, 24
	v_mul_lo_u32 v4, v4, 24
	s_waitcnt vmcnt(1)
	v_mov_b32_e32 v10, v12
	v_add_u32_e32 v5, v11, v5
	s_waitcnt vmcnt(0)
	v_add_co_u32_e32 v4, vcc, v14, v4
	v_addc_co_u32_e32 v5, vcc, v15, v5, vcc
	global_store_dwordx2 v[4:5], v[12:13], off
	v_mov_b32_e32 v11, v13
	s_waitcnt vmcnt(0)
	global_atomic_cmpswap_x2 v[10:11], v28, v[8:11], s[6:7] offset:24 glc
	s_waitcnt vmcnt(0)
	v_cmp_ne_u64_e32 vcc, v[10:11], v[12:13]
	s_and_b64 exec, exec, vcc
	s_cbranch_execz .LBB5_1026
; %bb.1106:                             ;   in Loop: Header=BB5_1027 Depth=1
	s_mov_b64 s[4:5], 0
.LBB5_1107:                             ;   Parent Loop BB5_1027 Depth=1
                                        ; =>  This Inner Loop Header: Depth=2
	s_sleep 1
	global_store_dwordx2 v[4:5], v[10:11], off
	s_waitcnt vmcnt(0)
	global_atomic_cmpswap_x2 v[12:13], v28, v[8:11], s[6:7] offset:24 glc
	s_waitcnt vmcnt(0)
	v_cmp_eq_u64_e32 vcc, v[12:13], v[10:11]
	v_mov_b32_e32 v10, v12
	s_or_b64 s[4:5], vcc, s[4:5]
	v_mov_b32_e32 v11, v13
	s_andn2_b64 exec, exec, s[4:5]
	s_cbranch_execnz .LBB5_1107
	s_branch .LBB5_1026
.LBB5_1108:
	s_branch .LBB5_1136
.LBB5_1109:
                                        ; implicit-def: $vgpr2_vgpr3
	s_cbranch_execz .LBB5_1136
; %bb.1110:
	v_readfirstlane_b32 s4, v32
	v_mov_b32_e32 v8, 0
	v_mov_b32_e32 v9, 0
	v_cmp_eq_u32_e64 s[4:5], s4, v32
	s_and_saveexec_b64 s[18:19], s[4:5]
	s_cbranch_execz .LBB5_1116
; %bb.1111:
	s_waitcnt vmcnt(0)
	v_mov_b32_e32 v2, 0
	global_load_dwordx2 v[5:6], v2, s[6:7] offset:24 glc
	s_waitcnt vmcnt(0)
	buffer_wbinvl1_vol
	global_load_dwordx2 v[3:4], v2, s[6:7] offset:40
	global_load_dwordx2 v[7:8], v2, s[6:7]
	s_waitcnt vmcnt(1)
	v_and_b32_e32 v3, v3, v5
	v_and_b32_e32 v4, v4, v6
	v_mul_lo_u32 v4, v4, 24
	v_mul_hi_u32 v9, v3, 24
	v_mul_lo_u32 v3, v3, 24
	v_add_u32_e32 v4, v9, v4
	s_waitcnt vmcnt(0)
	v_add_co_u32_e32 v3, vcc, v7, v3
	v_addc_co_u32_e32 v4, vcc, v8, v4, vcc
	global_load_dwordx2 v[3:4], v[3:4], off glc
	s_waitcnt vmcnt(0)
	global_atomic_cmpswap_x2 v[8:9], v2, v[3:6], s[6:7] offset:24 glc
	s_waitcnt vmcnt(0)
	buffer_wbinvl1_vol
	v_cmp_ne_u64_e32 vcc, v[8:9], v[5:6]
	s_and_saveexec_b64 s[20:21], vcc
	s_cbranch_execz .LBB5_1115
; %bb.1112:
	s_mov_b64 s[22:23], 0
.LBB5_1113:                             ; =>This Inner Loop Header: Depth=1
	s_sleep 1
	global_load_dwordx2 v[3:4], v2, s[6:7] offset:40
	global_load_dwordx2 v[10:11], v2, s[6:7]
	v_mov_b32_e32 v5, v8
	v_mov_b32_e32 v6, v9
	s_waitcnt vmcnt(1)
	v_and_b32_e32 v3, v3, v5
	s_waitcnt vmcnt(0)
	v_mad_u64_u32 v[7:8], s[24:25], v3, 24, v[10:11]
	v_and_b32_e32 v4, v4, v6
	v_mov_b32_e32 v3, v8
	v_mad_u64_u32 v[3:4], s[24:25], v4, 24, v[3:4]
	v_mov_b32_e32 v8, v3
	global_load_dwordx2 v[3:4], v[7:8], off glc
	s_waitcnt vmcnt(0)
	global_atomic_cmpswap_x2 v[8:9], v2, v[3:6], s[6:7] offset:24 glc
	s_waitcnt vmcnt(0)
	buffer_wbinvl1_vol
	v_cmp_eq_u64_e32 vcc, v[8:9], v[5:6]
	s_or_b64 s[22:23], vcc, s[22:23]
	s_andn2_b64 exec, exec, s[22:23]
	s_cbranch_execnz .LBB5_1113
; %bb.1114:
	s_or_b64 exec, exec, s[22:23]
.LBB5_1115:
	s_or_b64 exec, exec, s[20:21]
.LBB5_1116:
	s_or_b64 exec, exec, s[18:19]
	s_waitcnt vmcnt(0)
	v_mov_b32_e32 v2, 0
	global_load_dwordx2 v[10:11], v2, s[6:7] offset:40
	global_load_dwordx4 v[4:7], v2, s[6:7]
	v_readfirstlane_b32 s18, v8
	v_readfirstlane_b32 s19, v9
	s_mov_b64 s[20:21], exec
	s_waitcnt vmcnt(1)
	v_readfirstlane_b32 s22, v10
	v_readfirstlane_b32 s23, v11
	s_and_b64 s[22:23], s[18:19], s[22:23]
	s_mul_i32 s15, s23, 24
	s_mul_hi_u32 s24, s22, 24
	s_mul_i32 s25, s22, 24
	s_add_i32 s15, s24, s15
	v_mov_b32_e32 v3, s15
	s_waitcnt vmcnt(0)
	v_add_co_u32_e32 v8, vcc, s25, v4
	v_addc_co_u32_e32 v9, vcc, v5, v3, vcc
	s_and_saveexec_b64 s[24:25], s[4:5]
	s_cbranch_execz .LBB5_1118
; %bb.1117:
	v_mov_b32_e32 v10, s20
	v_mov_b32_e32 v11, s21
	;; [unrolled: 1-line block ×4, first 2 shown]
	global_store_dwordx4 v[8:9], v[10:13], off offset:8
.LBB5_1118:
	s_or_b64 exec, exec, s[24:25]
	s_lshl_b64 s[20:21], s[22:23], 12
	v_mov_b32_e32 v3, s21
	v_add_co_u32_e32 v10, vcc, s20, v6
	v_addc_co_u32_e32 v11, vcc, v7, v3, vcc
	s_movk_i32 s15, 0xff1f
	v_and_or_b32 v0, v0, s15, 32
	s_mov_b32 s20, 0
	v_mov_b32_e32 v3, v2
	v_readfirstlane_b32 s24, v10
	v_readfirstlane_b32 s25, v11
	v_add_co_u32_e32 v6, vcc, v10, v31
	s_mov_b32 s21, s20
	s_mov_b32 s22, s20
	;; [unrolled: 1-line block ×3, first 2 shown]
	s_nop 0
	global_store_dwordx4 v31, v[0:3], s[24:25]
	v_addc_co_u32_e32 v7, vcc, 0, v11, vcc
	v_mov_b32_e32 v0, s20
	v_mov_b32_e32 v1, s21
	;; [unrolled: 1-line block ×4, first 2 shown]
	global_store_dwordx4 v31, v[0:3], s[24:25] offset:16
	global_store_dwordx4 v31, v[0:3], s[24:25] offset:32
	;; [unrolled: 1-line block ×3, first 2 shown]
	s_and_saveexec_b64 s[20:21], s[4:5]
	s_cbranch_execz .LBB5_1126
; %bb.1119:
	v_mov_b32_e32 v10, 0
	global_load_dwordx2 v[13:14], v10, s[6:7] offset:32 glc
	global_load_dwordx2 v[0:1], v10, s[6:7] offset:40
	v_mov_b32_e32 v11, s18
	v_mov_b32_e32 v12, s19
	s_waitcnt vmcnt(0)
	v_readfirstlane_b32 s22, v0
	v_readfirstlane_b32 s23, v1
	s_and_b64 s[22:23], s[22:23], s[18:19]
	s_mul_i32 s15, s23, 24
	s_mul_hi_u32 s23, s22, 24
	s_mul_i32 s22, s22, 24
	s_add_i32 s15, s23, s15
	v_mov_b32_e32 v0, s15
	v_add_co_u32_e32 v4, vcc, s22, v4
	v_addc_co_u32_e32 v5, vcc, v5, v0, vcc
	global_store_dwordx2 v[4:5], v[13:14], off
	s_waitcnt vmcnt(0)
	global_atomic_cmpswap_x2 v[2:3], v10, v[11:14], s[6:7] offset:32 glc
	s_waitcnt vmcnt(0)
	v_cmp_ne_u64_e32 vcc, v[2:3], v[13:14]
	s_and_saveexec_b64 s[22:23], vcc
	s_cbranch_execz .LBB5_1122
; %bb.1120:
	s_mov_b64 s[24:25], 0
.LBB5_1121:                             ; =>This Inner Loop Header: Depth=1
	s_sleep 1
	global_store_dwordx2 v[4:5], v[2:3], off
	v_mov_b32_e32 v0, s18
	v_mov_b32_e32 v1, s19
	s_waitcnt vmcnt(0)
	global_atomic_cmpswap_x2 v[0:1], v10, v[0:3], s[6:7] offset:32 glc
	s_waitcnt vmcnt(0)
	v_cmp_eq_u64_e32 vcc, v[0:1], v[2:3]
	v_mov_b32_e32 v3, v1
	s_or_b64 s[24:25], vcc, s[24:25]
	v_mov_b32_e32 v2, v0
	s_andn2_b64 exec, exec, s[24:25]
	s_cbranch_execnz .LBB5_1121
.LBB5_1122:
	s_or_b64 exec, exec, s[22:23]
	v_mov_b32_e32 v3, 0
	global_load_dwordx2 v[0:1], v3, s[6:7] offset:16
	s_mov_b64 s[22:23], exec
	v_mbcnt_lo_u32_b32 v2, s22, 0
	v_mbcnt_hi_u32_b32 v2, s23, v2
	v_cmp_eq_u32_e32 vcc, 0, v2
	s_and_saveexec_b64 s[24:25], vcc
	s_cbranch_execz .LBB5_1124
; %bb.1123:
	s_bcnt1_i32_b64 s15, s[22:23]
	v_mov_b32_e32 v2, s15
	s_waitcnt vmcnt(0)
	global_atomic_add_x2 v[0:1], v[2:3], off offset:8
.LBB5_1124:
	s_or_b64 exec, exec, s[24:25]
	s_waitcnt vmcnt(0)
	global_load_dwordx2 v[2:3], v[0:1], off offset:16
	s_waitcnt vmcnt(0)
	v_cmp_eq_u64_e32 vcc, 0, v[2:3]
	s_cbranch_vccnz .LBB5_1126
; %bb.1125:
	global_load_dword v0, v[0:1], off offset:24
	v_mov_b32_e32 v1, 0
	s_waitcnt vmcnt(0)
	global_store_dwordx2 v[2:3], v[0:1], off
	v_and_b32_e32 v0, 0xffffff, v0
	v_readfirstlane_b32 m0, v0
	s_sendmsg sendmsg(MSG_INTERRUPT)
.LBB5_1126:
	s_or_b64 exec, exec, s[20:21]
	s_branch .LBB5_1130
.LBB5_1127:                             ;   in Loop: Header=BB5_1130 Depth=1
	s_or_b64 exec, exec, s[20:21]
	v_readfirstlane_b32 s15, v0
	s_cmp_eq_u32 s15, 0
	s_cbranch_scc1 .LBB5_1129
; %bb.1128:                             ;   in Loop: Header=BB5_1130 Depth=1
	s_sleep 1
	s_cbranch_execnz .LBB5_1130
	s_branch .LBB5_1132
.LBB5_1129:
	s_branch .LBB5_1132
.LBB5_1130:                             ; =>This Inner Loop Header: Depth=1
	v_mov_b32_e32 v0, 1
	s_and_saveexec_b64 s[20:21], s[4:5]
	s_cbranch_execz .LBB5_1127
; %bb.1131:                             ;   in Loop: Header=BB5_1130 Depth=1
	global_load_dword v0, v[8:9], off offset:20 glc
	s_waitcnt vmcnt(0)
	buffer_wbinvl1_vol
	v_and_b32_e32 v0, 1, v0
	s_branch .LBB5_1127
.LBB5_1132:
	global_load_dwordx2 v[2:3], v[6:7], off
	s_and_saveexec_b64 s[20:21], s[4:5]
	s_cbranch_execz .LBB5_1135
; %bb.1133:
	v_mov_b32_e32 v8, 0
	global_load_dwordx2 v[0:1], v8, s[6:7] offset:40
	global_load_dwordx2 v[9:10], v8, s[6:7] offset:24 glc
	global_load_dwordx2 v[11:12], v8, s[6:7]
	v_mov_b32_e32 v5, s19
	s_mov_b64 s[4:5], 0
	s_waitcnt vmcnt(2)
	v_add_co_u32_e32 v6, vcc, 1, v0
	v_addc_co_u32_e32 v7, vcc, 0, v1, vcc
	v_add_co_u32_e32 v4, vcc, s18, v6
	v_addc_co_u32_e32 v5, vcc, v7, v5, vcc
	v_cmp_eq_u64_e32 vcc, 0, v[4:5]
	v_cndmask_b32_e32 v5, v5, v7, vcc
	v_cndmask_b32_e32 v4, v4, v6, vcc
	v_and_b32_e32 v1, v5, v1
	v_and_b32_e32 v0, v4, v0
	v_mul_lo_u32 v1, v1, 24
	v_mul_hi_u32 v7, v0, 24
	v_mul_lo_u32 v0, v0, 24
	s_waitcnt vmcnt(1)
	v_mov_b32_e32 v6, v9
	v_add_u32_e32 v1, v7, v1
	s_waitcnt vmcnt(0)
	v_add_co_u32_e32 v0, vcc, v11, v0
	v_addc_co_u32_e32 v1, vcc, v12, v1, vcc
	global_store_dwordx2 v[0:1], v[9:10], off
	v_mov_b32_e32 v7, v10
	s_waitcnt vmcnt(0)
	global_atomic_cmpswap_x2 v[6:7], v8, v[4:7], s[6:7] offset:24 glc
	s_waitcnt vmcnt(0)
	v_cmp_ne_u64_e32 vcc, v[6:7], v[9:10]
	s_and_b64 exec, exec, vcc
	s_cbranch_execz .LBB5_1135
.LBB5_1134:                             ; =>This Inner Loop Header: Depth=1
	s_sleep 1
	global_store_dwordx2 v[0:1], v[6:7], off
	s_waitcnt vmcnt(0)
	global_atomic_cmpswap_x2 v[9:10], v8, v[4:7], s[6:7] offset:24 glc
	s_waitcnt vmcnt(0)
	v_cmp_eq_u64_e32 vcc, v[9:10], v[6:7]
	v_mov_b32_e32 v6, v9
	s_or_b64 s[4:5], vcc, s[4:5]
	v_mov_b32_e32 v7, v10
	s_andn2_b64 exec, exec, s[4:5]
	s_cbranch_execnz .LBB5_1134
.LBB5_1135:
	s_or_b64 exec, exec, s[20:21]
.LBB5_1136:
	v_readfirstlane_b32 s4, v32
	s_waitcnt vmcnt(0)
	v_mov_b32_e32 v0, 0
	v_mov_b32_e32 v1, 0
	v_cmp_eq_u32_e64 s[4:5], s4, v32
	s_and_saveexec_b64 s[18:19], s[4:5]
	s_cbranch_execz .LBB5_1142
; %bb.1137:
	v_mov_b32_e32 v4, 0
	global_load_dwordx2 v[7:8], v4, s[6:7] offset:24 glc
	s_waitcnt vmcnt(0)
	buffer_wbinvl1_vol
	global_load_dwordx2 v[0:1], v4, s[6:7] offset:40
	global_load_dwordx2 v[5:6], v4, s[6:7]
	s_waitcnt vmcnt(1)
	v_and_b32_e32 v0, v0, v7
	v_and_b32_e32 v1, v1, v8
	v_mul_lo_u32 v1, v1, 24
	v_mul_hi_u32 v9, v0, 24
	v_mul_lo_u32 v0, v0, 24
	v_add_u32_e32 v1, v9, v1
	s_waitcnt vmcnt(0)
	v_add_co_u32_e32 v0, vcc, v5, v0
	v_addc_co_u32_e32 v1, vcc, v6, v1, vcc
	global_load_dwordx2 v[5:6], v[0:1], off glc
	s_waitcnt vmcnt(0)
	global_atomic_cmpswap_x2 v[0:1], v4, v[5:8], s[6:7] offset:24 glc
	s_waitcnt vmcnt(0)
	buffer_wbinvl1_vol
	v_cmp_ne_u64_e32 vcc, v[0:1], v[7:8]
	s_and_saveexec_b64 s[20:21], vcc
	s_cbranch_execz .LBB5_1141
; %bb.1138:
	s_mov_b64 s[22:23], 0
.LBB5_1139:                             ; =>This Inner Loop Header: Depth=1
	s_sleep 1
	global_load_dwordx2 v[5:6], v4, s[6:7] offset:40
	global_load_dwordx2 v[9:10], v4, s[6:7]
	v_mov_b32_e32 v8, v1
	v_mov_b32_e32 v7, v0
	s_waitcnt vmcnt(1)
	v_and_b32_e32 v0, v5, v7
	s_waitcnt vmcnt(0)
	v_mad_u64_u32 v[0:1], s[24:25], v0, 24, v[9:10]
	v_and_b32_e32 v5, v6, v8
	v_mad_u64_u32 v[5:6], s[24:25], v5, 24, v[1:2]
	v_mov_b32_e32 v1, v5
	global_load_dwordx2 v[5:6], v[0:1], off glc
	s_waitcnt vmcnt(0)
	global_atomic_cmpswap_x2 v[0:1], v4, v[5:8], s[6:7] offset:24 glc
	s_waitcnt vmcnt(0)
	buffer_wbinvl1_vol
	v_cmp_eq_u64_e32 vcc, v[0:1], v[7:8]
	s_or_b64 s[22:23], vcc, s[22:23]
	s_andn2_b64 exec, exec, s[22:23]
	s_cbranch_execnz .LBB5_1139
; %bb.1140:
	s_or_b64 exec, exec, s[22:23]
.LBB5_1141:
	s_or_b64 exec, exec, s[20:21]
.LBB5_1142:
	s_or_b64 exec, exec, s[18:19]
	v_mov_b32_e32 v5, 0
	global_load_dwordx2 v[10:11], v5, s[6:7] offset:40
	global_load_dwordx4 v[6:9], v5, s[6:7]
	v_readfirstlane_b32 s18, v0
	v_readfirstlane_b32 s19, v1
	s_mov_b64 s[20:21], exec
	s_waitcnt vmcnt(1)
	v_readfirstlane_b32 s22, v10
	v_readfirstlane_b32 s23, v11
	s_and_b64 s[22:23], s[18:19], s[22:23]
	s_mul_i32 s15, s23, 24
	s_mul_hi_u32 s24, s22, 24
	s_mul_i32 s25, s22, 24
	s_add_i32 s15, s24, s15
	v_mov_b32_e32 v0, s15
	s_waitcnt vmcnt(0)
	v_add_co_u32_e32 v10, vcc, s25, v6
	v_addc_co_u32_e32 v11, vcc, v7, v0, vcc
	s_and_saveexec_b64 s[24:25], s[4:5]
	s_cbranch_execz .LBB5_1144
; %bb.1143:
	v_mov_b32_e32 v12, s20
	v_mov_b32_e32 v13, s21
	;; [unrolled: 1-line block ×4, first 2 shown]
	global_store_dwordx4 v[10:11], v[12:15], off offset:8
.LBB5_1144:
	s_or_b64 exec, exec, s[24:25]
	s_lshl_b64 s[20:21], s[22:23], 12
	v_mov_b32_e32 v0, s21
	v_add_co_u32_e32 v1, vcc, s20, v8
	v_addc_co_u32_e32 v0, vcc, v9, v0, vcc
	s_movk_i32 s15, 0xff1d
	v_and_or_b32 v2, v2, s15, 34
	s_mov_b32 s20, 0
	v_mov_b32_e32 v4, 58
	v_readfirstlane_b32 s24, v1
	v_readfirstlane_b32 s25, v0
	s_mov_b32 s21, s20
	s_mov_b32 s22, s20
	s_mov_b32 s23, s20
	s_nop 1
	global_store_dwordx4 v31, v[2:5], s[24:25]
	v_mov_b32_e32 v0, s20
	v_mov_b32_e32 v1, s21
	;; [unrolled: 1-line block ×4, first 2 shown]
	global_store_dwordx4 v31, v[0:3], s[24:25] offset:16
	global_store_dwordx4 v31, v[0:3], s[24:25] offset:32
	;; [unrolled: 1-line block ×3, first 2 shown]
	s_and_saveexec_b64 s[20:21], s[4:5]
	s_cbranch_execz .LBB5_1152
; %bb.1145:
	v_mov_b32_e32 v8, 0
	global_load_dwordx2 v[14:15], v8, s[6:7] offset:32 glc
	global_load_dwordx2 v[0:1], v8, s[6:7] offset:40
	v_mov_b32_e32 v12, s18
	v_mov_b32_e32 v13, s19
	s_waitcnt vmcnt(0)
	v_readfirstlane_b32 s22, v0
	v_readfirstlane_b32 s23, v1
	s_and_b64 s[22:23], s[22:23], s[18:19]
	s_mul_i32 s15, s23, 24
	s_mul_hi_u32 s23, s22, 24
	s_mul_i32 s22, s22, 24
	s_add_i32 s15, s23, s15
	v_mov_b32_e32 v0, s15
	v_add_co_u32_e32 v4, vcc, s22, v6
	v_addc_co_u32_e32 v5, vcc, v7, v0, vcc
	global_store_dwordx2 v[4:5], v[14:15], off
	s_waitcnt vmcnt(0)
	global_atomic_cmpswap_x2 v[2:3], v8, v[12:15], s[6:7] offset:32 glc
	s_waitcnt vmcnt(0)
	v_cmp_ne_u64_e32 vcc, v[2:3], v[14:15]
	s_and_saveexec_b64 s[22:23], vcc
	s_cbranch_execz .LBB5_1148
; %bb.1146:
	s_mov_b64 s[24:25], 0
.LBB5_1147:                             ; =>This Inner Loop Header: Depth=1
	s_sleep 1
	global_store_dwordx2 v[4:5], v[2:3], off
	v_mov_b32_e32 v0, s18
	v_mov_b32_e32 v1, s19
	s_waitcnt vmcnt(0)
	global_atomic_cmpswap_x2 v[0:1], v8, v[0:3], s[6:7] offset:32 glc
	s_waitcnt vmcnt(0)
	v_cmp_eq_u64_e32 vcc, v[0:1], v[2:3]
	v_mov_b32_e32 v3, v1
	s_or_b64 s[24:25], vcc, s[24:25]
	v_mov_b32_e32 v2, v0
	s_andn2_b64 exec, exec, s[24:25]
	s_cbranch_execnz .LBB5_1147
.LBB5_1148:
	s_or_b64 exec, exec, s[22:23]
	v_mov_b32_e32 v3, 0
	global_load_dwordx2 v[0:1], v3, s[6:7] offset:16
	s_mov_b64 s[22:23], exec
	v_mbcnt_lo_u32_b32 v2, s22, 0
	v_mbcnt_hi_u32_b32 v2, s23, v2
	v_cmp_eq_u32_e32 vcc, 0, v2
	s_and_saveexec_b64 s[24:25], vcc
	s_cbranch_execz .LBB5_1150
; %bb.1149:
	s_bcnt1_i32_b64 s15, s[22:23]
	v_mov_b32_e32 v2, s15
	s_waitcnt vmcnt(0)
	global_atomic_add_x2 v[0:1], v[2:3], off offset:8
.LBB5_1150:
	s_or_b64 exec, exec, s[24:25]
	s_waitcnt vmcnt(0)
	global_load_dwordx2 v[2:3], v[0:1], off offset:16
	s_waitcnt vmcnt(0)
	v_cmp_eq_u64_e32 vcc, 0, v[2:3]
	s_cbranch_vccnz .LBB5_1152
; %bb.1151:
	global_load_dword v0, v[0:1], off offset:24
	v_mov_b32_e32 v1, 0
	s_waitcnt vmcnt(0)
	global_store_dwordx2 v[2:3], v[0:1], off
	v_and_b32_e32 v0, 0xffffff, v0
	v_readfirstlane_b32 m0, v0
	s_sendmsg sendmsg(MSG_INTERRUPT)
.LBB5_1152:
	s_or_b64 exec, exec, s[20:21]
	s_branch .LBB5_1156
.LBB5_1153:                             ;   in Loop: Header=BB5_1156 Depth=1
	s_or_b64 exec, exec, s[20:21]
	v_readfirstlane_b32 s15, v0
	s_cmp_eq_u32 s15, 0
	s_cbranch_scc1 .LBB5_1155
; %bb.1154:                             ;   in Loop: Header=BB5_1156 Depth=1
	s_sleep 1
	s_cbranch_execnz .LBB5_1156
	s_branch .LBB5_1158
.LBB5_1155:
	s_branch .LBB5_1158
.LBB5_1156:                             ; =>This Inner Loop Header: Depth=1
	v_mov_b32_e32 v0, 1
	s_and_saveexec_b64 s[20:21], s[4:5]
	s_cbranch_execz .LBB5_1153
; %bb.1157:                             ;   in Loop: Header=BB5_1156 Depth=1
	global_load_dword v0, v[10:11], off offset:20 glc
	s_waitcnt vmcnt(0)
	buffer_wbinvl1_vol
	v_and_b32_e32 v0, 1, v0
	s_branch .LBB5_1153
.LBB5_1158:
	s_and_saveexec_b64 s[20:21], s[4:5]
	s_cbranch_execz .LBB5_1161
; %bb.1159:
	v_mov_b32_e32 v6, 0
	global_load_dwordx2 v[2:3], v6, s[6:7] offset:40
	global_load_dwordx2 v[7:8], v6, s[6:7] offset:24 glc
	global_load_dwordx2 v[4:5], v6, s[6:7]
	v_mov_b32_e32 v1, s19
	s_mov_b64 s[4:5], 0
	s_waitcnt vmcnt(2)
	v_add_co_u32_e32 v9, vcc, 1, v2
	v_addc_co_u32_e32 v10, vcc, 0, v3, vcc
	v_add_co_u32_e32 v0, vcc, s18, v9
	v_addc_co_u32_e32 v1, vcc, v10, v1, vcc
	v_cmp_eq_u64_e32 vcc, 0, v[0:1]
	v_cndmask_b32_e32 v1, v1, v10, vcc
	v_cndmask_b32_e32 v0, v0, v9, vcc
	v_and_b32_e32 v3, v1, v3
	v_and_b32_e32 v2, v0, v2
	v_mul_lo_u32 v3, v3, 24
	v_mul_hi_u32 v9, v2, 24
	v_mul_lo_u32 v10, v2, 24
	s_waitcnt vmcnt(1)
	v_mov_b32_e32 v2, v7
	v_add_u32_e32 v3, v9, v3
	s_waitcnt vmcnt(0)
	v_add_co_u32_e32 v4, vcc, v4, v10
	v_addc_co_u32_e32 v5, vcc, v5, v3, vcc
	global_store_dwordx2 v[4:5], v[7:8], off
	v_mov_b32_e32 v3, v8
	s_waitcnt vmcnt(0)
	global_atomic_cmpswap_x2 v[2:3], v6, v[0:3], s[6:7] offset:24 glc
	s_waitcnt vmcnt(0)
	v_cmp_ne_u64_e32 vcc, v[2:3], v[7:8]
	s_and_b64 exec, exec, vcc
	s_cbranch_execz .LBB5_1161
.LBB5_1160:                             ; =>This Inner Loop Header: Depth=1
	s_sleep 1
	global_store_dwordx2 v[4:5], v[2:3], off
	s_waitcnt vmcnt(0)
	global_atomic_cmpswap_x2 v[7:8], v6, v[0:3], s[6:7] offset:24 glc
	s_waitcnt vmcnt(0)
	v_cmp_eq_u64_e32 vcc, v[7:8], v[2:3]
	v_mov_b32_e32 v2, v7
	s_or_b64 s[4:5], vcc, s[4:5]
	v_mov_b32_e32 v3, v8
	s_andn2_b64 exec, exec, s[4:5]
	s_cbranch_execnz .LBB5_1160
.LBB5_1161:
	s_or_b64 exec, exec, s[20:21]
	v_readfirstlane_b32 s4, v32
	v_mov_b32_e32 v5, 0
	v_mov_b32_e32 v6, 0
	v_cmp_eq_u32_e64 s[4:5], s4, v32
	s_and_saveexec_b64 s[18:19], s[4:5]
	s_cbranch_execz .LBB5_1167
; %bb.1162:
	v_mov_b32_e32 v0, 0
	global_load_dwordx2 v[3:4], v0, s[6:7] offset:24 glc
	s_waitcnt vmcnt(0)
	buffer_wbinvl1_vol
	global_load_dwordx2 v[1:2], v0, s[6:7] offset:40
	global_load_dwordx2 v[5:6], v0, s[6:7]
	s_waitcnt vmcnt(1)
	v_and_b32_e32 v1, v1, v3
	v_and_b32_e32 v2, v2, v4
	v_mul_lo_u32 v2, v2, 24
	v_mul_hi_u32 v7, v1, 24
	v_mul_lo_u32 v1, v1, 24
	v_add_u32_e32 v2, v7, v2
	s_waitcnt vmcnt(0)
	v_add_co_u32_e32 v1, vcc, v5, v1
	v_addc_co_u32_e32 v2, vcc, v6, v2, vcc
	global_load_dwordx2 v[1:2], v[1:2], off glc
	s_waitcnt vmcnt(0)
	global_atomic_cmpswap_x2 v[5:6], v0, v[1:4], s[6:7] offset:24 glc
	s_waitcnt vmcnt(0)
	buffer_wbinvl1_vol
	v_cmp_ne_u64_e32 vcc, v[5:6], v[3:4]
	s_and_saveexec_b64 s[20:21], vcc
	s_cbranch_execz .LBB5_1166
; %bb.1163:
	s_mov_b64 s[22:23], 0
.LBB5_1164:                             ; =>This Inner Loop Header: Depth=1
	s_sleep 1
	global_load_dwordx2 v[1:2], v0, s[6:7] offset:40
	global_load_dwordx2 v[7:8], v0, s[6:7]
	v_mov_b32_e32 v3, v5
	v_mov_b32_e32 v4, v6
	s_waitcnt vmcnt(1)
	v_and_b32_e32 v1, v1, v3
	s_waitcnt vmcnt(0)
	v_mad_u64_u32 v[5:6], s[24:25], v1, 24, v[7:8]
	v_and_b32_e32 v2, v2, v4
	v_mov_b32_e32 v1, v6
	v_mad_u64_u32 v[1:2], s[24:25], v2, 24, v[1:2]
	v_mov_b32_e32 v6, v1
	global_load_dwordx2 v[1:2], v[5:6], off glc
	s_waitcnt vmcnt(0)
	global_atomic_cmpswap_x2 v[5:6], v0, v[1:4], s[6:7] offset:24 glc
	s_waitcnt vmcnt(0)
	buffer_wbinvl1_vol
	v_cmp_eq_u64_e32 vcc, v[5:6], v[3:4]
	s_or_b64 s[22:23], vcc, s[22:23]
	s_andn2_b64 exec, exec, s[22:23]
	s_cbranch_execnz .LBB5_1164
; %bb.1165:
	s_or_b64 exec, exec, s[22:23]
.LBB5_1166:
	s_or_b64 exec, exec, s[20:21]
.LBB5_1167:
	s_or_b64 exec, exec, s[18:19]
	v_mov_b32_e32 v4, 0
	global_load_dwordx2 v[7:8], v4, s[6:7] offset:40
	global_load_dwordx4 v[0:3], v4, s[6:7]
	v_readfirstlane_b32 s18, v5
	v_readfirstlane_b32 s19, v6
	s_mov_b64 s[20:21], exec
	s_waitcnt vmcnt(1)
	v_readfirstlane_b32 s22, v7
	v_readfirstlane_b32 s23, v8
	s_and_b64 s[22:23], s[18:19], s[22:23]
	s_mul_i32 s15, s23, 24
	s_mul_hi_u32 s24, s22, 24
	s_mul_i32 s25, s22, 24
	s_add_i32 s15, s24, s15
	v_mov_b32_e32 v5, s15
	s_waitcnt vmcnt(0)
	v_add_co_u32_e32 v7, vcc, s25, v0
	v_addc_co_u32_e32 v8, vcc, v1, v5, vcc
	s_and_saveexec_b64 s[24:25], s[4:5]
	s_cbranch_execz .LBB5_1169
; %bb.1168:
	v_mov_b32_e32 v9, s20
	v_mov_b32_e32 v10, s21
	;; [unrolled: 1-line block ×4, first 2 shown]
	global_store_dwordx4 v[7:8], v[9:12], off offset:8
.LBB5_1169:
	s_or_b64 exec, exec, s[24:25]
	s_lshl_b64 s[20:21], s[22:23], 12
	v_mov_b32_e32 v5, s21
	v_add_co_u32_e32 v2, vcc, s20, v2
	v_addc_co_u32_e32 v11, vcc, v3, v5, vcc
	s_mov_b32 s20, 0
	v_mov_b32_e32 v3, 33
	v_mov_b32_e32 v5, v4
	;; [unrolled: 1-line block ×3, first 2 shown]
	v_readfirstlane_b32 s24, v2
	v_readfirstlane_b32 s25, v11
	v_add_co_u32_e32 v9, vcc, v2, v31
	s_mov_b32 s21, s20
	s_mov_b32 s22, s20
	;; [unrolled: 1-line block ×3, first 2 shown]
	s_nop 0
	global_store_dwordx4 v31, v[3:6], s[24:25]
	v_mov_b32_e32 v2, s20
	v_addc_co_u32_e32 v10, vcc, 0, v11, vcc
	v_mov_b32_e32 v3, s21
	v_mov_b32_e32 v4, s22
	;; [unrolled: 1-line block ×3, first 2 shown]
	global_store_dwordx4 v31, v[2:5], s[24:25] offset:16
	global_store_dwordx4 v31, v[2:5], s[24:25] offset:32
	;; [unrolled: 1-line block ×3, first 2 shown]
	s_and_saveexec_b64 s[20:21], s[4:5]
	s_cbranch_execz .LBB5_1177
; %bb.1170:
	v_mov_b32_e32 v6, 0
	global_load_dwordx2 v[13:14], v6, s[6:7] offset:32 glc
	global_load_dwordx2 v[2:3], v6, s[6:7] offset:40
	v_mov_b32_e32 v11, s18
	v_mov_b32_e32 v12, s19
	s_waitcnt vmcnt(0)
	v_readfirstlane_b32 s22, v2
	v_readfirstlane_b32 s23, v3
	s_and_b64 s[22:23], s[22:23], s[18:19]
	s_mul_i32 s15, s23, 24
	s_mul_hi_u32 s23, s22, 24
	s_mul_i32 s22, s22, 24
	s_add_i32 s15, s23, s15
	v_mov_b32_e32 v2, s15
	v_add_co_u32_e32 v4, vcc, s22, v0
	v_addc_co_u32_e32 v5, vcc, v1, v2, vcc
	global_store_dwordx2 v[4:5], v[13:14], off
	s_waitcnt vmcnt(0)
	global_atomic_cmpswap_x2 v[2:3], v6, v[11:14], s[6:7] offset:32 glc
	s_waitcnt vmcnt(0)
	v_cmp_ne_u64_e32 vcc, v[2:3], v[13:14]
	s_and_saveexec_b64 s[22:23], vcc
	s_cbranch_execz .LBB5_1173
; %bb.1171:
	s_mov_b64 s[24:25], 0
.LBB5_1172:                             ; =>This Inner Loop Header: Depth=1
	s_sleep 1
	global_store_dwordx2 v[4:5], v[2:3], off
	v_mov_b32_e32 v0, s18
	v_mov_b32_e32 v1, s19
	s_waitcnt vmcnt(0)
	global_atomic_cmpswap_x2 v[0:1], v6, v[0:3], s[6:7] offset:32 glc
	s_waitcnt vmcnt(0)
	v_cmp_eq_u64_e32 vcc, v[0:1], v[2:3]
	v_mov_b32_e32 v3, v1
	s_or_b64 s[24:25], vcc, s[24:25]
	v_mov_b32_e32 v2, v0
	s_andn2_b64 exec, exec, s[24:25]
	s_cbranch_execnz .LBB5_1172
.LBB5_1173:
	s_or_b64 exec, exec, s[22:23]
	v_mov_b32_e32 v3, 0
	global_load_dwordx2 v[0:1], v3, s[6:7] offset:16
	s_mov_b64 s[22:23], exec
	v_mbcnt_lo_u32_b32 v2, s22, 0
	v_mbcnt_hi_u32_b32 v2, s23, v2
	v_cmp_eq_u32_e32 vcc, 0, v2
	s_and_saveexec_b64 s[24:25], vcc
	s_cbranch_execz .LBB5_1175
; %bb.1174:
	s_bcnt1_i32_b64 s15, s[22:23]
	v_mov_b32_e32 v2, s15
	s_waitcnt vmcnt(0)
	global_atomic_add_x2 v[0:1], v[2:3], off offset:8
.LBB5_1175:
	s_or_b64 exec, exec, s[24:25]
	s_waitcnt vmcnt(0)
	global_load_dwordx2 v[2:3], v[0:1], off offset:16
	s_waitcnt vmcnt(0)
	v_cmp_eq_u64_e32 vcc, 0, v[2:3]
	s_cbranch_vccnz .LBB5_1177
; %bb.1176:
	global_load_dword v0, v[0:1], off offset:24
	v_mov_b32_e32 v1, 0
	s_waitcnt vmcnt(0)
	global_store_dwordx2 v[2:3], v[0:1], off
	v_and_b32_e32 v0, 0xffffff, v0
	v_readfirstlane_b32 m0, v0
	s_sendmsg sendmsg(MSG_INTERRUPT)
.LBB5_1177:
	s_or_b64 exec, exec, s[20:21]
	s_branch .LBB5_1181
.LBB5_1178:                             ;   in Loop: Header=BB5_1181 Depth=1
	s_or_b64 exec, exec, s[20:21]
	v_readfirstlane_b32 s15, v0
	s_cmp_eq_u32 s15, 0
	s_cbranch_scc1 .LBB5_1180
; %bb.1179:                             ;   in Loop: Header=BB5_1181 Depth=1
	s_sleep 1
	s_cbranch_execnz .LBB5_1181
	s_branch .LBB5_1183
.LBB5_1180:
	s_branch .LBB5_1183
.LBB5_1181:                             ; =>This Inner Loop Header: Depth=1
	v_mov_b32_e32 v0, 1
	s_and_saveexec_b64 s[20:21], s[4:5]
	s_cbranch_execz .LBB5_1178
; %bb.1182:                             ;   in Loop: Header=BB5_1181 Depth=1
	global_load_dword v0, v[7:8], off offset:20 glc
	s_waitcnt vmcnt(0)
	buffer_wbinvl1_vol
	v_and_b32_e32 v0, 1, v0
	s_branch .LBB5_1178
.LBB5_1183:
	global_load_dwordx2 v[0:1], v[9:10], off
	s_and_saveexec_b64 s[20:21], s[4:5]
	s_cbranch_execz .LBB5_1186
; %bb.1184:
	v_mov_b32_e32 v8, 0
	global_load_dwordx2 v[4:5], v8, s[6:7] offset:40
	global_load_dwordx2 v[9:10], v8, s[6:7] offset:24 glc
	global_load_dwordx2 v[6:7], v8, s[6:7]
	v_mov_b32_e32 v3, s19
	s_mov_b64 s[4:5], 0
	s_waitcnt vmcnt(2)
	v_add_co_u32_e32 v11, vcc, 1, v4
	v_addc_co_u32_e32 v12, vcc, 0, v5, vcc
	v_add_co_u32_e32 v2, vcc, s18, v11
	v_addc_co_u32_e32 v3, vcc, v12, v3, vcc
	v_cmp_eq_u64_e32 vcc, 0, v[2:3]
	v_cndmask_b32_e32 v3, v3, v12, vcc
	v_cndmask_b32_e32 v2, v2, v11, vcc
	v_and_b32_e32 v5, v3, v5
	v_and_b32_e32 v4, v2, v4
	v_mul_lo_u32 v5, v5, 24
	v_mul_hi_u32 v11, v4, 24
	v_mul_lo_u32 v12, v4, 24
	s_waitcnt vmcnt(1)
	v_mov_b32_e32 v4, v9
	v_add_u32_e32 v5, v11, v5
	s_waitcnt vmcnt(0)
	v_add_co_u32_e32 v6, vcc, v6, v12
	v_addc_co_u32_e32 v7, vcc, v7, v5, vcc
	global_store_dwordx2 v[6:7], v[9:10], off
	v_mov_b32_e32 v5, v10
	s_waitcnt vmcnt(0)
	global_atomic_cmpswap_x2 v[4:5], v8, v[2:5], s[6:7] offset:24 glc
	s_waitcnt vmcnt(0)
	v_cmp_ne_u64_e32 vcc, v[4:5], v[9:10]
	s_and_b64 exec, exec, vcc
	s_cbranch_execz .LBB5_1186
.LBB5_1185:                             ; =>This Inner Loop Header: Depth=1
	s_sleep 1
	global_store_dwordx2 v[6:7], v[4:5], off
	s_waitcnt vmcnt(0)
	global_atomic_cmpswap_x2 v[9:10], v8, v[2:5], s[6:7] offset:24 glc
	s_waitcnt vmcnt(0)
	v_cmp_eq_u64_e32 vcc, v[9:10], v[4:5]
	v_mov_b32_e32 v4, v9
	s_or_b64 s[4:5], vcc, s[4:5]
	v_mov_b32_e32 v5, v10
	s_andn2_b64 exec, exec, s[4:5]
	s_cbranch_execnz .LBB5_1185
.LBB5_1186:
	s_or_b64 exec, exec, s[20:21]
	s_and_b64 vcc, exec, s[16:17]
	s_cbranch_vccz .LBB5_1271
; %bb.1187:
	s_waitcnt vmcnt(0)
	v_and_b32_e32 v33, 2, v0
	v_mov_b32_e32 v28, 0
	v_and_b32_e32 v2, -3, v0
	v_mov_b32_e32 v3, v1
	s_mov_b64 s[18:19], 3
	v_mov_b32_e32 v6, 2
	v_mov_b32_e32 v7, 1
	s_getpc_b64 s[16:17]
	s_add_u32 s16, s16, .str.6@rel32@lo+4
	s_addc_u32 s17, s17, .str.6@rel32@hi+12
	s_branch .LBB5_1189
.LBB5_1188:                             ;   in Loop: Header=BB5_1189 Depth=1
	s_or_b64 exec, exec, s[24:25]
	s_sub_u32 s18, s18, s20
	s_subb_u32 s19, s19, s21
	s_add_u32 s16, s16, s20
	s_addc_u32 s17, s17, s21
	s_cmp_lg_u64 s[18:19], 0
	s_cbranch_scc0 .LBB5_1270
.LBB5_1189:                             ; =>This Loop Header: Depth=1
                                        ;     Child Loop BB5_1192 Depth 2
                                        ;     Child Loop BB5_1199 Depth 2
	;; [unrolled: 1-line block ×11, first 2 shown]
	v_cmp_lt_u64_e64 s[4:5], s[18:19], 56
	v_cmp_gt_u64_e64 s[22:23], s[18:19], 7
	s_and_b64 s[4:5], s[4:5], exec
	s_cselect_b32 s21, s19, 0
	s_cselect_b32 s20, s18, 56
	s_and_b64 vcc, exec, s[22:23]
	s_cbranch_vccnz .LBB5_1194
; %bb.1190:                             ;   in Loop: Header=BB5_1189 Depth=1
	v_mov_b32_e32 v10, 0
	s_cmp_eq_u64 s[18:19], 0
	v_mov_b32_e32 v11, 0
	s_mov_b64 s[4:5], 0
	s_cbranch_scc1 .LBB5_1193
; %bb.1191:                             ;   in Loop: Header=BB5_1189 Depth=1
	v_mov_b32_e32 v10, 0
	s_lshl_b64 s[22:23], s[20:21], 3
	s_mov_b64 s[24:25], 0
	v_mov_b32_e32 v11, 0
	s_mov_b64 s[26:27], s[16:17]
.LBB5_1192:                             ;   Parent Loop BB5_1189 Depth=1
                                        ; =>  This Inner Loop Header: Depth=2
	global_load_ubyte v4, v28, s[26:27]
	s_waitcnt vmcnt(0)
	v_and_b32_e32 v27, 0xffff, v4
	v_lshlrev_b64 v[4:5], s24, v[27:28]
	s_add_u32 s24, s24, 8
	s_addc_u32 s25, s25, 0
	s_add_u32 s26, s26, 1
	s_addc_u32 s27, s27, 0
	v_or_b32_e32 v10, v4, v10
	s_cmp_lg_u32 s22, s24
	v_or_b32_e32 v11, v5, v11
	s_cbranch_scc1 .LBB5_1192
.LBB5_1193:                             ;   in Loop: Header=BB5_1189 Depth=1
	s_mov_b32 s15, 0
	s_andn2_b64 vcc, exec, s[4:5]
	s_mov_b64 s[4:5], s[16:17]
	s_cbranch_vccz .LBB5_1195
	s_branch .LBB5_1196
.LBB5_1194:                             ;   in Loop: Header=BB5_1189 Depth=1
                                        ; implicit-def: $vgpr10_vgpr11
                                        ; implicit-def: $sgpr15
	s_mov_b64 s[4:5], s[16:17]
.LBB5_1195:                             ;   in Loop: Header=BB5_1189 Depth=1
	global_load_dwordx2 v[10:11], v28, s[16:17]
	s_add_i32 s15, s20, -8
	s_add_u32 s4, s16, 8
	s_addc_u32 s5, s17, 0
.LBB5_1196:                             ;   in Loop: Header=BB5_1189 Depth=1
	s_cmp_gt_u32 s15, 7
	s_cbranch_scc1 .LBB5_1200
; %bb.1197:                             ;   in Loop: Header=BB5_1189 Depth=1
	s_cmp_eq_u32 s15, 0
	s_cbranch_scc1 .LBB5_1201
; %bb.1198:                             ;   in Loop: Header=BB5_1189 Depth=1
	v_mov_b32_e32 v12, 0
	s_mov_b64 s[22:23], 0
	v_mov_b32_e32 v13, 0
	s_mov_b64 s[24:25], 0
.LBB5_1199:                             ;   Parent Loop BB5_1189 Depth=1
                                        ; =>  This Inner Loop Header: Depth=2
	s_add_u32 s26, s4, s24
	s_addc_u32 s27, s5, s25
	global_load_ubyte v4, v28, s[26:27]
	s_add_u32 s24, s24, 1
	s_addc_u32 s25, s25, 0
	s_waitcnt vmcnt(0)
	v_and_b32_e32 v27, 0xffff, v4
	v_lshlrev_b64 v[4:5], s22, v[27:28]
	s_add_u32 s22, s22, 8
	s_addc_u32 s23, s23, 0
	v_or_b32_e32 v12, v4, v12
	s_cmp_lg_u32 s15, s24
	v_or_b32_e32 v13, v5, v13
	s_cbranch_scc1 .LBB5_1199
	s_branch .LBB5_1202
.LBB5_1200:                             ;   in Loop: Header=BB5_1189 Depth=1
                                        ; implicit-def: $vgpr12_vgpr13
                                        ; implicit-def: $sgpr26
	s_branch .LBB5_1203
.LBB5_1201:                             ;   in Loop: Header=BB5_1189 Depth=1
	v_mov_b32_e32 v12, 0
	v_mov_b32_e32 v13, 0
.LBB5_1202:                             ;   in Loop: Header=BB5_1189 Depth=1
	s_mov_b32 s26, 0
	s_cbranch_execnz .LBB5_1204
.LBB5_1203:                             ;   in Loop: Header=BB5_1189 Depth=1
	global_load_dwordx2 v[12:13], v28, s[4:5]
	s_add_i32 s26, s15, -8
	s_add_u32 s4, s4, 8
	s_addc_u32 s5, s5, 0
.LBB5_1204:                             ;   in Loop: Header=BB5_1189 Depth=1
	s_cmp_gt_u32 s26, 7
	s_cbranch_scc1 .LBB5_1208
; %bb.1205:                             ;   in Loop: Header=BB5_1189 Depth=1
	s_cmp_eq_u32 s26, 0
	s_cbranch_scc1 .LBB5_1209
; %bb.1206:                             ;   in Loop: Header=BB5_1189 Depth=1
	v_mov_b32_e32 v14, 0
	s_mov_b64 s[22:23], 0
	v_mov_b32_e32 v15, 0
	s_mov_b64 s[24:25], 0
.LBB5_1207:                             ;   Parent Loop BB5_1189 Depth=1
                                        ; =>  This Inner Loop Header: Depth=2
	s_add_u32 s28, s4, s24
	s_addc_u32 s29, s5, s25
	global_load_ubyte v4, v28, s[28:29]
	s_add_u32 s24, s24, 1
	s_addc_u32 s25, s25, 0
	s_waitcnt vmcnt(0)
	v_and_b32_e32 v27, 0xffff, v4
	v_lshlrev_b64 v[4:5], s22, v[27:28]
	s_add_u32 s22, s22, 8
	s_addc_u32 s23, s23, 0
	v_or_b32_e32 v14, v4, v14
	s_cmp_lg_u32 s26, s24
	v_or_b32_e32 v15, v5, v15
	s_cbranch_scc1 .LBB5_1207
	s_branch .LBB5_1210
.LBB5_1208:                             ;   in Loop: Header=BB5_1189 Depth=1
                                        ; implicit-def: $sgpr15
	s_branch .LBB5_1211
.LBB5_1209:                             ;   in Loop: Header=BB5_1189 Depth=1
	v_mov_b32_e32 v14, 0
	v_mov_b32_e32 v15, 0
.LBB5_1210:                             ;   in Loop: Header=BB5_1189 Depth=1
	s_mov_b32 s15, 0
	s_cbranch_execnz .LBB5_1212
.LBB5_1211:                             ;   in Loop: Header=BB5_1189 Depth=1
	global_load_dwordx2 v[14:15], v28, s[4:5]
	s_add_i32 s15, s26, -8
	s_add_u32 s4, s4, 8
	s_addc_u32 s5, s5, 0
.LBB5_1212:                             ;   in Loop: Header=BB5_1189 Depth=1
	s_cmp_gt_u32 s15, 7
	s_cbranch_scc1 .LBB5_1216
; %bb.1213:                             ;   in Loop: Header=BB5_1189 Depth=1
	s_cmp_eq_u32 s15, 0
	s_cbranch_scc1 .LBB5_1217
; %bb.1214:                             ;   in Loop: Header=BB5_1189 Depth=1
	v_mov_b32_e32 v16, 0
	s_mov_b64 s[22:23], 0
	v_mov_b32_e32 v17, 0
	s_mov_b64 s[24:25], 0
.LBB5_1215:                             ;   Parent Loop BB5_1189 Depth=1
                                        ; =>  This Inner Loop Header: Depth=2
	s_add_u32 s26, s4, s24
	s_addc_u32 s27, s5, s25
	global_load_ubyte v4, v28, s[26:27]
	s_add_u32 s24, s24, 1
	s_addc_u32 s25, s25, 0
	s_waitcnt vmcnt(0)
	v_and_b32_e32 v27, 0xffff, v4
	v_lshlrev_b64 v[4:5], s22, v[27:28]
	s_add_u32 s22, s22, 8
	s_addc_u32 s23, s23, 0
	v_or_b32_e32 v16, v4, v16
	s_cmp_lg_u32 s15, s24
	v_or_b32_e32 v17, v5, v17
	s_cbranch_scc1 .LBB5_1215
	s_branch .LBB5_1218
.LBB5_1216:                             ;   in Loop: Header=BB5_1189 Depth=1
                                        ; implicit-def: $vgpr16_vgpr17
                                        ; implicit-def: $sgpr26
	s_branch .LBB5_1219
.LBB5_1217:                             ;   in Loop: Header=BB5_1189 Depth=1
	v_mov_b32_e32 v16, 0
	v_mov_b32_e32 v17, 0
.LBB5_1218:                             ;   in Loop: Header=BB5_1189 Depth=1
	s_mov_b32 s26, 0
	s_cbranch_execnz .LBB5_1220
.LBB5_1219:                             ;   in Loop: Header=BB5_1189 Depth=1
	global_load_dwordx2 v[16:17], v28, s[4:5]
	s_add_i32 s26, s15, -8
	s_add_u32 s4, s4, 8
	s_addc_u32 s5, s5, 0
.LBB5_1220:                             ;   in Loop: Header=BB5_1189 Depth=1
	s_cmp_gt_u32 s26, 7
	s_cbranch_scc1 .LBB5_1224
; %bb.1221:                             ;   in Loop: Header=BB5_1189 Depth=1
	s_cmp_eq_u32 s26, 0
	s_cbranch_scc1 .LBB5_1225
; %bb.1222:                             ;   in Loop: Header=BB5_1189 Depth=1
	v_mov_b32_e32 v18, 0
	s_mov_b64 s[22:23], 0
	v_mov_b32_e32 v19, 0
	s_mov_b64 s[24:25], 0
.LBB5_1223:                             ;   Parent Loop BB5_1189 Depth=1
                                        ; =>  This Inner Loop Header: Depth=2
	s_add_u32 s28, s4, s24
	s_addc_u32 s29, s5, s25
	global_load_ubyte v4, v28, s[28:29]
	s_add_u32 s24, s24, 1
	s_addc_u32 s25, s25, 0
	s_waitcnt vmcnt(0)
	v_and_b32_e32 v27, 0xffff, v4
	v_lshlrev_b64 v[4:5], s22, v[27:28]
	s_add_u32 s22, s22, 8
	s_addc_u32 s23, s23, 0
	v_or_b32_e32 v18, v4, v18
	s_cmp_lg_u32 s26, s24
	v_or_b32_e32 v19, v5, v19
	s_cbranch_scc1 .LBB5_1223
	s_branch .LBB5_1226
.LBB5_1224:                             ;   in Loop: Header=BB5_1189 Depth=1
                                        ; implicit-def: $sgpr15
	s_branch .LBB5_1227
.LBB5_1225:                             ;   in Loop: Header=BB5_1189 Depth=1
	v_mov_b32_e32 v18, 0
	v_mov_b32_e32 v19, 0
.LBB5_1226:                             ;   in Loop: Header=BB5_1189 Depth=1
	s_mov_b32 s15, 0
	s_cbranch_execnz .LBB5_1228
.LBB5_1227:                             ;   in Loop: Header=BB5_1189 Depth=1
	global_load_dwordx2 v[18:19], v28, s[4:5]
	s_add_i32 s15, s26, -8
	s_add_u32 s4, s4, 8
	s_addc_u32 s5, s5, 0
.LBB5_1228:                             ;   in Loop: Header=BB5_1189 Depth=1
	s_cmp_gt_u32 s15, 7
	s_cbranch_scc1 .LBB5_1232
; %bb.1229:                             ;   in Loop: Header=BB5_1189 Depth=1
	s_cmp_eq_u32 s15, 0
	s_cbranch_scc1 .LBB5_1233
; %bb.1230:                             ;   in Loop: Header=BB5_1189 Depth=1
	v_mov_b32_e32 v20, 0
	s_mov_b64 s[22:23], 0
	v_mov_b32_e32 v21, 0
	s_mov_b64 s[24:25], 0
.LBB5_1231:                             ;   Parent Loop BB5_1189 Depth=1
                                        ; =>  This Inner Loop Header: Depth=2
	s_add_u32 s26, s4, s24
	s_addc_u32 s27, s5, s25
	global_load_ubyte v4, v28, s[26:27]
	s_add_u32 s24, s24, 1
	s_addc_u32 s25, s25, 0
	s_waitcnt vmcnt(0)
	v_and_b32_e32 v27, 0xffff, v4
	v_lshlrev_b64 v[4:5], s22, v[27:28]
	s_add_u32 s22, s22, 8
	s_addc_u32 s23, s23, 0
	v_or_b32_e32 v20, v4, v20
	s_cmp_lg_u32 s15, s24
	v_or_b32_e32 v21, v5, v21
	s_cbranch_scc1 .LBB5_1231
	s_branch .LBB5_1234
.LBB5_1232:                             ;   in Loop: Header=BB5_1189 Depth=1
                                        ; implicit-def: $vgpr20_vgpr21
                                        ; implicit-def: $sgpr26
	s_branch .LBB5_1235
.LBB5_1233:                             ;   in Loop: Header=BB5_1189 Depth=1
	v_mov_b32_e32 v20, 0
	v_mov_b32_e32 v21, 0
.LBB5_1234:                             ;   in Loop: Header=BB5_1189 Depth=1
	s_mov_b32 s26, 0
	s_cbranch_execnz .LBB5_1236
.LBB5_1235:                             ;   in Loop: Header=BB5_1189 Depth=1
	global_load_dwordx2 v[20:21], v28, s[4:5]
	s_add_i32 s26, s15, -8
	s_add_u32 s4, s4, 8
	s_addc_u32 s5, s5, 0
.LBB5_1236:                             ;   in Loop: Header=BB5_1189 Depth=1
	s_cmp_gt_u32 s26, 7
	s_cbranch_scc1 .LBB5_1240
; %bb.1237:                             ;   in Loop: Header=BB5_1189 Depth=1
	s_cmp_eq_u32 s26, 0
	s_cbranch_scc1 .LBB5_1241
; %bb.1238:                             ;   in Loop: Header=BB5_1189 Depth=1
	v_mov_b32_e32 v22, 0
	s_mov_b64 s[22:23], 0
	v_mov_b32_e32 v23, 0
	s_mov_b64 s[24:25], s[4:5]
.LBB5_1239:                             ;   Parent Loop BB5_1189 Depth=1
                                        ; =>  This Inner Loop Header: Depth=2
	global_load_ubyte v4, v28, s[24:25]
	s_add_i32 s26, s26, -1
	s_waitcnt vmcnt(0)
	v_and_b32_e32 v27, 0xffff, v4
	v_lshlrev_b64 v[4:5], s22, v[27:28]
	s_add_u32 s22, s22, 8
	s_addc_u32 s23, s23, 0
	s_add_u32 s24, s24, 1
	s_addc_u32 s25, s25, 0
	v_or_b32_e32 v22, v4, v22
	s_cmp_lg_u32 s26, 0
	v_or_b32_e32 v23, v5, v23
	s_cbranch_scc1 .LBB5_1239
	s_branch .LBB5_1242
.LBB5_1240:                             ;   in Loop: Header=BB5_1189 Depth=1
	s_branch .LBB5_1243
.LBB5_1241:                             ;   in Loop: Header=BB5_1189 Depth=1
	v_mov_b32_e32 v22, 0
	v_mov_b32_e32 v23, 0
.LBB5_1242:                             ;   in Loop: Header=BB5_1189 Depth=1
	s_cbranch_execnz .LBB5_1244
.LBB5_1243:                             ;   in Loop: Header=BB5_1189 Depth=1
	global_load_dwordx2 v[22:23], v28, s[4:5]
.LBB5_1244:                             ;   in Loop: Header=BB5_1189 Depth=1
	v_readfirstlane_b32 s4, v32
	s_waitcnt vmcnt(0)
	v_mov_b32_e32 v4, 0
	v_mov_b32_e32 v5, 0
	v_cmp_eq_u32_e64 s[4:5], s4, v32
	s_and_saveexec_b64 s[22:23], s[4:5]
	s_cbranch_execz .LBB5_1250
; %bb.1245:                             ;   in Loop: Header=BB5_1189 Depth=1
	global_load_dwordx2 v[26:27], v28, s[6:7] offset:24 glc
	s_waitcnt vmcnt(0)
	buffer_wbinvl1_vol
	global_load_dwordx2 v[4:5], v28, s[6:7] offset:40
	global_load_dwordx2 v[8:9], v28, s[6:7]
	s_waitcnt vmcnt(1)
	v_and_b32_e32 v4, v4, v26
	v_and_b32_e32 v5, v5, v27
	v_mul_lo_u32 v5, v5, 24
	v_mul_hi_u32 v24, v4, 24
	v_mul_lo_u32 v4, v4, 24
	v_add_u32_e32 v5, v24, v5
	s_waitcnt vmcnt(0)
	v_add_co_u32_e32 v4, vcc, v8, v4
	v_addc_co_u32_e32 v5, vcc, v9, v5, vcc
	global_load_dwordx2 v[24:25], v[4:5], off glc
	s_waitcnt vmcnt(0)
	global_atomic_cmpswap_x2 v[4:5], v28, v[24:27], s[6:7] offset:24 glc
	s_waitcnt vmcnt(0)
	buffer_wbinvl1_vol
	v_cmp_ne_u64_e32 vcc, v[4:5], v[26:27]
	s_and_saveexec_b64 s[24:25], vcc
	s_cbranch_execz .LBB5_1249
; %bb.1246:                             ;   in Loop: Header=BB5_1189 Depth=1
	s_mov_b64 s[26:27], 0
.LBB5_1247:                             ;   Parent Loop BB5_1189 Depth=1
                                        ; =>  This Inner Loop Header: Depth=2
	s_sleep 1
	global_load_dwordx2 v[8:9], v28, s[6:7] offset:40
	global_load_dwordx2 v[24:25], v28, s[6:7]
	v_mov_b32_e32 v27, v5
	v_mov_b32_e32 v26, v4
	s_waitcnt vmcnt(1)
	v_and_b32_e32 v4, v8, v26
	s_waitcnt vmcnt(0)
	v_mad_u64_u32 v[4:5], s[28:29], v4, 24, v[24:25]
	v_and_b32_e32 v8, v9, v27
	v_mad_u64_u32 v[8:9], s[28:29], v8, 24, v[5:6]
	v_mov_b32_e32 v5, v8
	global_load_dwordx2 v[24:25], v[4:5], off glc
	s_waitcnt vmcnt(0)
	global_atomic_cmpswap_x2 v[4:5], v28, v[24:27], s[6:7] offset:24 glc
	s_waitcnt vmcnt(0)
	buffer_wbinvl1_vol
	v_cmp_eq_u64_e32 vcc, v[4:5], v[26:27]
	s_or_b64 s[26:27], vcc, s[26:27]
	s_andn2_b64 exec, exec, s[26:27]
	s_cbranch_execnz .LBB5_1247
; %bb.1248:                             ;   in Loop: Header=BB5_1189 Depth=1
	s_or_b64 exec, exec, s[26:27]
.LBB5_1249:                             ;   in Loop: Header=BB5_1189 Depth=1
	s_or_b64 exec, exec, s[24:25]
.LBB5_1250:                             ;   in Loop: Header=BB5_1189 Depth=1
	s_or_b64 exec, exec, s[22:23]
	global_load_dwordx2 v[8:9], v28, s[6:7] offset:40
	global_load_dwordx4 v[24:27], v28, s[6:7]
	v_readfirstlane_b32 s22, v4
	v_readfirstlane_b32 s23, v5
	s_mov_b64 s[24:25], exec
	s_waitcnt vmcnt(1)
	v_readfirstlane_b32 s26, v8
	v_readfirstlane_b32 s27, v9
	s_and_b64 s[26:27], s[22:23], s[26:27]
	s_mul_i32 s15, s27, 24
	s_mul_hi_u32 s28, s26, 24
	s_mul_i32 s29, s26, 24
	s_add_i32 s15, s28, s15
	v_mov_b32_e32 v4, s15
	s_waitcnt vmcnt(0)
	v_add_co_u32_e32 v29, vcc, s29, v24
	v_addc_co_u32_e32 v30, vcc, v25, v4, vcc
	s_and_saveexec_b64 s[28:29], s[4:5]
	s_cbranch_execz .LBB5_1252
; %bb.1251:                             ;   in Loop: Header=BB5_1189 Depth=1
	v_mov_b32_e32 v4, s24
	v_mov_b32_e32 v5, s25
	global_store_dwordx4 v[29:30], v[4:7], off offset:8
.LBB5_1252:                             ;   in Loop: Header=BB5_1189 Depth=1
	s_or_b64 exec, exec, s[28:29]
	s_lshl_b64 s[24:25], s[26:27], 12
	v_mov_b32_e32 v4, s25
	v_add_co_u32_e32 v26, vcc, s24, v26
	v_addc_co_u32_e32 v34, vcc, v27, v4, vcc
	v_cmp_gt_u64_e64 vcc, s[18:19], 56
	v_or_b32_e32 v5, v2, v33
	s_lshl_b32 s15, s20, 2
	v_cndmask_b32_e32 v2, v5, v2, vcc
	s_add_i32 s15, s15, 28
	v_or_b32_e32 v4, 0, v3
	s_and_b32 s15, s15, 0x1e0
	v_and_b32_e32 v2, 0xffffff1f, v2
	v_cndmask_b32_e32 v9, v4, v3, vcc
	v_or_b32_e32 v8, s15, v2
	v_readfirstlane_b32 s24, v26
	v_readfirstlane_b32 s25, v34
	s_nop 4
	global_store_dwordx4 v31, v[8:11], s[24:25]
	global_store_dwordx4 v31, v[12:15], s[24:25] offset:16
	global_store_dwordx4 v31, v[16:19], s[24:25] offset:32
	;; [unrolled: 1-line block ×3, first 2 shown]
	s_and_saveexec_b64 s[24:25], s[4:5]
	s_cbranch_execz .LBB5_1260
; %bb.1253:                             ;   in Loop: Header=BB5_1189 Depth=1
	global_load_dwordx2 v[12:13], v28, s[6:7] offset:32 glc
	global_load_dwordx2 v[2:3], v28, s[6:7] offset:40
	v_mov_b32_e32 v10, s22
	v_mov_b32_e32 v11, s23
	s_waitcnt vmcnt(0)
	v_readfirstlane_b32 s26, v2
	v_readfirstlane_b32 s27, v3
	s_and_b64 s[26:27], s[26:27], s[22:23]
	s_mul_i32 s15, s27, 24
	s_mul_hi_u32 s27, s26, 24
	s_mul_i32 s26, s26, 24
	s_add_i32 s15, s27, s15
	v_mov_b32_e32 v2, s15
	v_add_co_u32_e32 v8, vcc, s26, v24
	v_addc_co_u32_e32 v9, vcc, v25, v2, vcc
	global_store_dwordx2 v[8:9], v[12:13], off
	s_waitcnt vmcnt(0)
	global_atomic_cmpswap_x2 v[4:5], v28, v[10:13], s[6:7] offset:32 glc
	s_waitcnt vmcnt(0)
	v_cmp_ne_u64_e32 vcc, v[4:5], v[12:13]
	s_and_saveexec_b64 s[26:27], vcc
	s_cbranch_execz .LBB5_1256
; %bb.1254:                             ;   in Loop: Header=BB5_1189 Depth=1
	s_mov_b64 s[28:29], 0
.LBB5_1255:                             ;   Parent Loop BB5_1189 Depth=1
                                        ; =>  This Inner Loop Header: Depth=2
	s_sleep 1
	global_store_dwordx2 v[8:9], v[4:5], off
	v_mov_b32_e32 v2, s22
	v_mov_b32_e32 v3, s23
	s_waitcnt vmcnt(0)
	global_atomic_cmpswap_x2 v[2:3], v28, v[2:5], s[6:7] offset:32 glc
	s_waitcnt vmcnt(0)
	v_cmp_eq_u64_e32 vcc, v[2:3], v[4:5]
	v_mov_b32_e32 v5, v3
	s_or_b64 s[28:29], vcc, s[28:29]
	v_mov_b32_e32 v4, v2
	s_andn2_b64 exec, exec, s[28:29]
	s_cbranch_execnz .LBB5_1255
.LBB5_1256:                             ;   in Loop: Header=BB5_1189 Depth=1
	s_or_b64 exec, exec, s[26:27]
	global_load_dwordx2 v[2:3], v28, s[6:7] offset:16
	s_mov_b64 s[28:29], exec
	v_mbcnt_lo_u32_b32 v4, s28, 0
	v_mbcnt_hi_u32_b32 v4, s29, v4
	v_cmp_eq_u32_e32 vcc, 0, v4
	s_and_saveexec_b64 s[26:27], vcc
	s_cbranch_execz .LBB5_1258
; %bb.1257:                             ;   in Loop: Header=BB5_1189 Depth=1
	s_bcnt1_i32_b64 s15, s[28:29]
	v_mov_b32_e32 v27, s15
	s_waitcnt vmcnt(0)
	global_atomic_add_x2 v[2:3], v[27:28], off offset:8
.LBB5_1258:                             ;   in Loop: Header=BB5_1189 Depth=1
	s_or_b64 exec, exec, s[26:27]
	s_waitcnt vmcnt(0)
	global_load_dwordx2 v[4:5], v[2:3], off offset:16
	s_waitcnt vmcnt(0)
	v_cmp_eq_u64_e32 vcc, 0, v[4:5]
	s_cbranch_vccnz .LBB5_1260
; %bb.1259:                             ;   in Loop: Header=BB5_1189 Depth=1
	global_load_dword v27, v[2:3], off offset:24
	s_waitcnt vmcnt(0)
	v_and_b32_e32 v2, 0xffffff, v27
	v_readfirstlane_b32 m0, v2
	global_store_dwordx2 v[4:5], v[27:28], off
	s_sendmsg sendmsg(MSG_INTERRUPT)
.LBB5_1260:                             ;   in Loop: Header=BB5_1189 Depth=1
	s_or_b64 exec, exec, s[24:25]
	v_add_co_u32_e32 v2, vcc, v26, v31
	v_addc_co_u32_e32 v3, vcc, 0, v34, vcc
	s_branch .LBB5_1264
.LBB5_1261:                             ;   in Loop: Header=BB5_1264 Depth=2
	s_or_b64 exec, exec, s[24:25]
	v_readfirstlane_b32 s15, v4
	s_cmp_eq_u32 s15, 0
	s_cbranch_scc1 .LBB5_1263
; %bb.1262:                             ;   in Loop: Header=BB5_1264 Depth=2
	s_sleep 1
	s_cbranch_execnz .LBB5_1264
	s_branch .LBB5_1266
.LBB5_1263:                             ;   in Loop: Header=BB5_1189 Depth=1
	s_branch .LBB5_1266
.LBB5_1264:                             ;   Parent Loop BB5_1189 Depth=1
                                        ; =>  This Inner Loop Header: Depth=2
	v_mov_b32_e32 v4, 1
	s_and_saveexec_b64 s[24:25], s[4:5]
	s_cbranch_execz .LBB5_1261
; %bb.1265:                             ;   in Loop: Header=BB5_1264 Depth=2
	global_load_dword v4, v[29:30], off offset:20 glc
	s_waitcnt vmcnt(0)
	buffer_wbinvl1_vol
	v_and_b32_e32 v4, 1, v4
	s_branch .LBB5_1261
.LBB5_1266:                             ;   in Loop: Header=BB5_1189 Depth=1
	global_load_dwordx4 v[2:5], v[2:3], off
	s_and_saveexec_b64 s[24:25], s[4:5]
	s_cbranch_execz .LBB5_1188
; %bb.1267:                             ;   in Loop: Header=BB5_1189 Depth=1
	global_load_dwordx2 v[4:5], v28, s[6:7] offset:40
	global_load_dwordx2 v[12:13], v28, s[6:7] offset:24 glc
	global_load_dwordx2 v[14:15], v28, s[6:7]
	v_mov_b32_e32 v9, s23
	s_waitcnt vmcnt(2)
	v_add_co_u32_e32 v10, vcc, 1, v4
	v_addc_co_u32_e32 v11, vcc, 0, v5, vcc
	v_add_co_u32_e32 v8, vcc, s22, v10
	v_addc_co_u32_e32 v9, vcc, v11, v9, vcc
	v_cmp_eq_u64_e32 vcc, 0, v[8:9]
	v_cndmask_b32_e32 v9, v9, v11, vcc
	v_cndmask_b32_e32 v8, v8, v10, vcc
	v_and_b32_e32 v5, v9, v5
	v_and_b32_e32 v4, v8, v4
	v_mul_lo_u32 v5, v5, 24
	v_mul_hi_u32 v11, v4, 24
	v_mul_lo_u32 v4, v4, 24
	s_waitcnt vmcnt(1)
	v_mov_b32_e32 v10, v12
	v_add_u32_e32 v5, v11, v5
	s_waitcnt vmcnt(0)
	v_add_co_u32_e32 v4, vcc, v14, v4
	v_addc_co_u32_e32 v5, vcc, v15, v5, vcc
	global_store_dwordx2 v[4:5], v[12:13], off
	v_mov_b32_e32 v11, v13
	s_waitcnt vmcnt(0)
	global_atomic_cmpswap_x2 v[10:11], v28, v[8:11], s[6:7] offset:24 glc
	s_waitcnt vmcnt(0)
	v_cmp_ne_u64_e32 vcc, v[10:11], v[12:13]
	s_and_b64 exec, exec, vcc
	s_cbranch_execz .LBB5_1188
; %bb.1268:                             ;   in Loop: Header=BB5_1189 Depth=1
	s_mov_b64 s[4:5], 0
.LBB5_1269:                             ;   Parent Loop BB5_1189 Depth=1
                                        ; =>  This Inner Loop Header: Depth=2
	s_sleep 1
	global_store_dwordx2 v[4:5], v[10:11], off
	s_waitcnt vmcnt(0)
	global_atomic_cmpswap_x2 v[12:13], v28, v[8:11], s[6:7] offset:24 glc
	s_waitcnt vmcnt(0)
	v_cmp_eq_u64_e32 vcc, v[12:13], v[10:11]
	v_mov_b32_e32 v10, v12
	s_or_b64 s[4:5], vcc, s[4:5]
	v_mov_b32_e32 v11, v13
	s_andn2_b64 exec, exec, s[4:5]
	s_cbranch_execnz .LBB5_1269
	s_branch .LBB5_1188
.LBB5_1270:
	s_branch .LBB5_1298
.LBB5_1271:
                                        ; implicit-def: $vgpr2_vgpr3
	s_cbranch_execz .LBB5_1298
; %bb.1272:
	v_readfirstlane_b32 s4, v32
	v_mov_b32_e32 v8, 0
	v_mov_b32_e32 v9, 0
	v_cmp_eq_u32_e64 s[4:5], s4, v32
	s_and_saveexec_b64 s[16:17], s[4:5]
	s_cbranch_execz .LBB5_1278
; %bb.1273:
	s_waitcnt vmcnt(0)
	v_mov_b32_e32 v2, 0
	global_load_dwordx2 v[5:6], v2, s[6:7] offset:24 glc
	s_waitcnt vmcnt(0)
	buffer_wbinvl1_vol
	global_load_dwordx2 v[3:4], v2, s[6:7] offset:40
	global_load_dwordx2 v[7:8], v2, s[6:7]
	s_waitcnt vmcnt(1)
	v_and_b32_e32 v3, v3, v5
	v_and_b32_e32 v4, v4, v6
	v_mul_lo_u32 v4, v4, 24
	v_mul_hi_u32 v9, v3, 24
	v_mul_lo_u32 v3, v3, 24
	v_add_u32_e32 v4, v9, v4
	s_waitcnt vmcnt(0)
	v_add_co_u32_e32 v3, vcc, v7, v3
	v_addc_co_u32_e32 v4, vcc, v8, v4, vcc
	global_load_dwordx2 v[3:4], v[3:4], off glc
	s_waitcnt vmcnt(0)
	global_atomic_cmpswap_x2 v[8:9], v2, v[3:6], s[6:7] offset:24 glc
	s_waitcnt vmcnt(0)
	buffer_wbinvl1_vol
	v_cmp_ne_u64_e32 vcc, v[8:9], v[5:6]
	s_and_saveexec_b64 s[18:19], vcc
	s_cbranch_execz .LBB5_1277
; %bb.1274:
	s_mov_b64 s[20:21], 0
.LBB5_1275:                             ; =>This Inner Loop Header: Depth=1
	s_sleep 1
	global_load_dwordx2 v[3:4], v2, s[6:7] offset:40
	global_load_dwordx2 v[10:11], v2, s[6:7]
	v_mov_b32_e32 v5, v8
	v_mov_b32_e32 v6, v9
	s_waitcnt vmcnt(1)
	v_and_b32_e32 v3, v3, v5
	s_waitcnt vmcnt(0)
	v_mad_u64_u32 v[7:8], s[22:23], v3, 24, v[10:11]
	v_and_b32_e32 v4, v4, v6
	v_mov_b32_e32 v3, v8
	v_mad_u64_u32 v[3:4], s[22:23], v4, 24, v[3:4]
	v_mov_b32_e32 v8, v3
	global_load_dwordx2 v[3:4], v[7:8], off glc
	s_waitcnt vmcnt(0)
	global_atomic_cmpswap_x2 v[8:9], v2, v[3:6], s[6:7] offset:24 glc
	s_waitcnt vmcnt(0)
	buffer_wbinvl1_vol
	v_cmp_eq_u64_e32 vcc, v[8:9], v[5:6]
	s_or_b64 s[20:21], vcc, s[20:21]
	s_andn2_b64 exec, exec, s[20:21]
	s_cbranch_execnz .LBB5_1275
; %bb.1276:
	s_or_b64 exec, exec, s[20:21]
.LBB5_1277:
	s_or_b64 exec, exec, s[18:19]
.LBB5_1278:
	s_or_b64 exec, exec, s[16:17]
	s_waitcnt vmcnt(0)
	v_mov_b32_e32 v2, 0
	global_load_dwordx2 v[10:11], v2, s[6:7] offset:40
	global_load_dwordx4 v[4:7], v2, s[6:7]
	v_readfirstlane_b32 s16, v8
	v_readfirstlane_b32 s17, v9
	s_mov_b64 s[18:19], exec
	s_waitcnt vmcnt(1)
	v_readfirstlane_b32 s20, v10
	v_readfirstlane_b32 s21, v11
	s_and_b64 s[20:21], s[16:17], s[20:21]
	s_mul_i32 s15, s21, 24
	s_mul_hi_u32 s22, s20, 24
	s_mul_i32 s23, s20, 24
	s_add_i32 s15, s22, s15
	v_mov_b32_e32 v3, s15
	s_waitcnt vmcnt(0)
	v_add_co_u32_e32 v8, vcc, s23, v4
	v_addc_co_u32_e32 v9, vcc, v5, v3, vcc
	s_and_saveexec_b64 s[22:23], s[4:5]
	s_cbranch_execz .LBB5_1280
; %bb.1279:
	v_mov_b32_e32 v10, s18
	v_mov_b32_e32 v11, s19
	;; [unrolled: 1-line block ×4, first 2 shown]
	global_store_dwordx4 v[8:9], v[10:13], off offset:8
.LBB5_1280:
	s_or_b64 exec, exec, s[22:23]
	s_lshl_b64 s[18:19], s[20:21], 12
	v_mov_b32_e32 v3, s19
	v_add_co_u32_e32 v10, vcc, s18, v6
	v_addc_co_u32_e32 v11, vcc, v7, v3, vcc
	s_movk_i32 s15, 0xff1f
	v_and_or_b32 v0, v0, s15, 32
	s_mov_b32 s20, 0
	v_mov_b32_e32 v3, v2
	v_readfirstlane_b32 s18, v10
	v_readfirstlane_b32 s19, v11
	v_add_co_u32_e32 v6, vcc, v10, v31
	s_mov_b32 s21, s20
	s_mov_b32 s22, s20
	s_mov_b32 s23, s20
	s_nop 0
	global_store_dwordx4 v31, v[0:3], s[18:19]
	v_addc_co_u32_e32 v7, vcc, 0, v11, vcc
	v_mov_b32_e32 v0, s20
	v_mov_b32_e32 v1, s21
	;; [unrolled: 1-line block ×4, first 2 shown]
	global_store_dwordx4 v31, v[0:3], s[18:19] offset:16
	global_store_dwordx4 v31, v[0:3], s[18:19] offset:32
	;; [unrolled: 1-line block ×3, first 2 shown]
	s_and_saveexec_b64 s[18:19], s[4:5]
	s_cbranch_execz .LBB5_1288
; %bb.1281:
	v_mov_b32_e32 v10, 0
	global_load_dwordx2 v[13:14], v10, s[6:7] offset:32 glc
	global_load_dwordx2 v[0:1], v10, s[6:7] offset:40
	v_mov_b32_e32 v11, s16
	v_mov_b32_e32 v12, s17
	s_waitcnt vmcnt(0)
	v_readfirstlane_b32 s20, v0
	v_readfirstlane_b32 s21, v1
	s_and_b64 s[20:21], s[20:21], s[16:17]
	s_mul_i32 s15, s21, 24
	s_mul_hi_u32 s21, s20, 24
	s_mul_i32 s20, s20, 24
	s_add_i32 s15, s21, s15
	v_mov_b32_e32 v0, s15
	v_add_co_u32_e32 v4, vcc, s20, v4
	v_addc_co_u32_e32 v5, vcc, v5, v0, vcc
	global_store_dwordx2 v[4:5], v[13:14], off
	s_waitcnt vmcnt(0)
	global_atomic_cmpswap_x2 v[2:3], v10, v[11:14], s[6:7] offset:32 glc
	s_waitcnt vmcnt(0)
	v_cmp_ne_u64_e32 vcc, v[2:3], v[13:14]
	s_and_saveexec_b64 s[20:21], vcc
	s_cbranch_execz .LBB5_1284
; %bb.1282:
	s_mov_b64 s[22:23], 0
.LBB5_1283:                             ; =>This Inner Loop Header: Depth=1
	s_sleep 1
	global_store_dwordx2 v[4:5], v[2:3], off
	v_mov_b32_e32 v0, s16
	v_mov_b32_e32 v1, s17
	s_waitcnt vmcnt(0)
	global_atomic_cmpswap_x2 v[0:1], v10, v[0:3], s[6:7] offset:32 glc
	s_waitcnt vmcnt(0)
	v_cmp_eq_u64_e32 vcc, v[0:1], v[2:3]
	v_mov_b32_e32 v3, v1
	s_or_b64 s[22:23], vcc, s[22:23]
	v_mov_b32_e32 v2, v0
	s_andn2_b64 exec, exec, s[22:23]
	s_cbranch_execnz .LBB5_1283
.LBB5_1284:
	s_or_b64 exec, exec, s[20:21]
	v_mov_b32_e32 v3, 0
	global_load_dwordx2 v[0:1], v3, s[6:7] offset:16
	s_mov_b64 s[20:21], exec
	v_mbcnt_lo_u32_b32 v2, s20, 0
	v_mbcnt_hi_u32_b32 v2, s21, v2
	v_cmp_eq_u32_e32 vcc, 0, v2
	s_and_saveexec_b64 s[22:23], vcc
	s_cbranch_execz .LBB5_1286
; %bb.1285:
	s_bcnt1_i32_b64 s15, s[20:21]
	v_mov_b32_e32 v2, s15
	s_waitcnt vmcnt(0)
	global_atomic_add_x2 v[0:1], v[2:3], off offset:8
.LBB5_1286:
	s_or_b64 exec, exec, s[22:23]
	s_waitcnt vmcnt(0)
	global_load_dwordx2 v[2:3], v[0:1], off offset:16
	s_waitcnt vmcnt(0)
	v_cmp_eq_u64_e32 vcc, 0, v[2:3]
	s_cbranch_vccnz .LBB5_1288
; %bb.1287:
	global_load_dword v0, v[0:1], off offset:24
	v_mov_b32_e32 v1, 0
	s_waitcnt vmcnt(0)
	global_store_dwordx2 v[2:3], v[0:1], off
	v_and_b32_e32 v0, 0xffffff, v0
	v_readfirstlane_b32 m0, v0
	s_sendmsg sendmsg(MSG_INTERRUPT)
.LBB5_1288:
	s_or_b64 exec, exec, s[18:19]
	s_branch .LBB5_1292
.LBB5_1289:                             ;   in Loop: Header=BB5_1292 Depth=1
	s_or_b64 exec, exec, s[18:19]
	v_readfirstlane_b32 s15, v0
	s_cmp_eq_u32 s15, 0
	s_cbranch_scc1 .LBB5_1291
; %bb.1290:                             ;   in Loop: Header=BB5_1292 Depth=1
	s_sleep 1
	s_cbranch_execnz .LBB5_1292
	s_branch .LBB5_1294
.LBB5_1291:
	s_branch .LBB5_1294
.LBB5_1292:                             ; =>This Inner Loop Header: Depth=1
	v_mov_b32_e32 v0, 1
	s_and_saveexec_b64 s[18:19], s[4:5]
	s_cbranch_execz .LBB5_1289
; %bb.1293:                             ;   in Loop: Header=BB5_1292 Depth=1
	global_load_dword v0, v[8:9], off offset:20 glc
	s_waitcnt vmcnt(0)
	buffer_wbinvl1_vol
	v_and_b32_e32 v0, 1, v0
	s_branch .LBB5_1289
.LBB5_1294:
	global_load_dwordx2 v[2:3], v[6:7], off
	s_and_saveexec_b64 s[18:19], s[4:5]
	s_cbranch_execz .LBB5_1297
; %bb.1295:
	v_mov_b32_e32 v8, 0
	global_load_dwordx2 v[0:1], v8, s[6:7] offset:40
	global_load_dwordx2 v[9:10], v8, s[6:7] offset:24 glc
	global_load_dwordx2 v[11:12], v8, s[6:7]
	v_mov_b32_e32 v5, s17
	s_mov_b64 s[4:5], 0
	s_waitcnt vmcnt(2)
	v_add_co_u32_e32 v6, vcc, 1, v0
	v_addc_co_u32_e32 v7, vcc, 0, v1, vcc
	v_add_co_u32_e32 v4, vcc, s16, v6
	v_addc_co_u32_e32 v5, vcc, v7, v5, vcc
	v_cmp_eq_u64_e32 vcc, 0, v[4:5]
	v_cndmask_b32_e32 v5, v5, v7, vcc
	v_cndmask_b32_e32 v4, v4, v6, vcc
	v_and_b32_e32 v1, v5, v1
	v_and_b32_e32 v0, v4, v0
	v_mul_lo_u32 v1, v1, 24
	v_mul_hi_u32 v7, v0, 24
	v_mul_lo_u32 v0, v0, 24
	s_waitcnt vmcnt(1)
	v_mov_b32_e32 v6, v9
	v_add_u32_e32 v1, v7, v1
	s_waitcnt vmcnt(0)
	v_add_co_u32_e32 v0, vcc, v11, v0
	v_addc_co_u32_e32 v1, vcc, v12, v1, vcc
	global_store_dwordx2 v[0:1], v[9:10], off
	v_mov_b32_e32 v7, v10
	s_waitcnt vmcnt(0)
	global_atomic_cmpswap_x2 v[6:7], v8, v[4:7], s[6:7] offset:24 glc
	s_waitcnt vmcnt(0)
	v_cmp_ne_u64_e32 vcc, v[6:7], v[9:10]
	s_and_b64 exec, exec, vcc
	s_cbranch_execz .LBB5_1297
.LBB5_1296:                             ; =>This Inner Loop Header: Depth=1
	s_sleep 1
	global_store_dwordx2 v[0:1], v[6:7], off
	s_waitcnt vmcnt(0)
	global_atomic_cmpswap_x2 v[9:10], v8, v[4:7], s[6:7] offset:24 glc
	s_waitcnt vmcnt(0)
	v_cmp_eq_u64_e32 vcc, v[9:10], v[6:7]
	v_mov_b32_e32 v6, v9
	s_or_b64 s[4:5], vcc, s[4:5]
	v_mov_b32_e32 v7, v10
	s_andn2_b64 exec, exec, s[4:5]
	s_cbranch_execnz .LBB5_1296
.LBB5_1297:
	s_or_b64 exec, exec, s[18:19]
.LBB5_1298:
	v_readfirstlane_b32 s4, v32
	s_waitcnt vmcnt(0)
	v_mov_b32_e32 v0, 0
	v_mov_b32_e32 v1, 0
	v_cmp_eq_u32_e64 s[4:5], s4, v32
	s_and_saveexec_b64 s[16:17], s[4:5]
	s_cbranch_execz .LBB5_1304
; %bb.1299:
	v_mov_b32_e32 v4, 0
	global_load_dwordx2 v[7:8], v4, s[6:7] offset:24 glc
	s_waitcnt vmcnt(0)
	buffer_wbinvl1_vol
	global_load_dwordx2 v[0:1], v4, s[6:7] offset:40
	global_load_dwordx2 v[5:6], v4, s[6:7]
	s_waitcnt vmcnt(1)
	v_and_b32_e32 v0, v0, v7
	v_and_b32_e32 v1, v1, v8
	v_mul_lo_u32 v1, v1, 24
	v_mul_hi_u32 v9, v0, 24
	v_mul_lo_u32 v0, v0, 24
	v_add_u32_e32 v1, v9, v1
	s_waitcnt vmcnt(0)
	v_add_co_u32_e32 v0, vcc, v5, v0
	v_addc_co_u32_e32 v1, vcc, v6, v1, vcc
	global_load_dwordx2 v[5:6], v[0:1], off glc
	s_waitcnt vmcnt(0)
	global_atomic_cmpswap_x2 v[0:1], v4, v[5:8], s[6:7] offset:24 glc
	s_waitcnt vmcnt(0)
	buffer_wbinvl1_vol
	v_cmp_ne_u64_e32 vcc, v[0:1], v[7:8]
	s_and_saveexec_b64 s[18:19], vcc
	s_cbranch_execz .LBB5_1303
; %bb.1300:
	s_mov_b64 s[20:21], 0
.LBB5_1301:                             ; =>This Inner Loop Header: Depth=1
	s_sleep 1
	global_load_dwordx2 v[5:6], v4, s[6:7] offset:40
	global_load_dwordx2 v[9:10], v4, s[6:7]
	v_mov_b32_e32 v8, v1
	v_mov_b32_e32 v7, v0
	s_waitcnt vmcnt(1)
	v_and_b32_e32 v0, v5, v7
	s_waitcnt vmcnt(0)
	v_mad_u64_u32 v[0:1], s[22:23], v0, 24, v[9:10]
	v_and_b32_e32 v5, v6, v8
	v_mad_u64_u32 v[5:6], s[22:23], v5, 24, v[1:2]
	v_mov_b32_e32 v1, v5
	global_load_dwordx2 v[5:6], v[0:1], off glc
	s_waitcnt vmcnt(0)
	global_atomic_cmpswap_x2 v[0:1], v4, v[5:8], s[6:7] offset:24 glc
	s_waitcnt vmcnt(0)
	buffer_wbinvl1_vol
	v_cmp_eq_u64_e32 vcc, v[0:1], v[7:8]
	s_or_b64 s[20:21], vcc, s[20:21]
	s_andn2_b64 exec, exec, s[20:21]
	s_cbranch_execnz .LBB5_1301
; %bb.1302:
	s_or_b64 exec, exec, s[20:21]
.LBB5_1303:
	s_or_b64 exec, exec, s[18:19]
.LBB5_1304:
	s_or_b64 exec, exec, s[16:17]
	v_mov_b32_e32 v5, 0
	global_load_dwordx2 v[10:11], v5, s[6:7] offset:40
	global_load_dwordx4 v[6:9], v5, s[6:7]
	v_readfirstlane_b32 s16, v0
	v_readfirstlane_b32 s17, v1
	s_mov_b64 s[18:19], exec
	s_waitcnt vmcnt(1)
	v_readfirstlane_b32 s20, v10
	v_readfirstlane_b32 s21, v11
	s_and_b64 s[20:21], s[16:17], s[20:21]
	s_mul_i32 s15, s21, 24
	s_mul_hi_u32 s22, s20, 24
	s_mul_i32 s23, s20, 24
	s_add_i32 s15, s22, s15
	v_mov_b32_e32 v0, s15
	s_waitcnt vmcnt(0)
	v_add_co_u32_e32 v10, vcc, s23, v6
	v_addc_co_u32_e32 v11, vcc, v7, v0, vcc
	s_and_saveexec_b64 s[22:23], s[4:5]
	s_cbranch_execz .LBB5_1306
; %bb.1305:
	v_mov_b32_e32 v12, s18
	v_mov_b32_e32 v13, s19
	v_mov_b32_e32 v14, 2
	v_mov_b32_e32 v15, 1
	global_store_dwordx4 v[10:11], v[12:15], off offset:8
.LBB5_1306:
	s_or_b64 exec, exec, s[22:23]
	s_lshl_b64 s[18:19], s[20:21], 12
	v_mov_b32_e32 v0, s19
	v_add_co_u32_e32 v1, vcc, s18, v8
	v_addc_co_u32_e32 v0, vcc, v9, v0, vcc
	s_movk_i32 s15, 0xff1d
	v_and_or_b32 v2, v2, s15, 34
	s_mov_b32 s20, 0
	v_mov_b32_e32 v4, 10
	v_readfirstlane_b32 s18, v1
	v_readfirstlane_b32 s19, v0
	s_mov_b32 s21, s20
	s_mov_b32 s22, s20
	;; [unrolled: 1-line block ×3, first 2 shown]
	s_nop 1
	global_store_dwordx4 v31, v[2:5], s[18:19]
	v_mov_b32_e32 v0, s20
	v_mov_b32_e32 v1, s21
	;; [unrolled: 1-line block ×4, first 2 shown]
	global_store_dwordx4 v31, v[0:3], s[18:19] offset:16
	global_store_dwordx4 v31, v[0:3], s[18:19] offset:32
	global_store_dwordx4 v31, v[0:3], s[18:19] offset:48
	s_and_saveexec_b64 s[18:19], s[4:5]
	s_cbranch_execz .LBB5_1314
; %bb.1307:
	v_mov_b32_e32 v8, 0
	global_load_dwordx2 v[14:15], v8, s[6:7] offset:32 glc
	global_load_dwordx2 v[0:1], v8, s[6:7] offset:40
	v_mov_b32_e32 v12, s16
	v_mov_b32_e32 v13, s17
	s_waitcnt vmcnt(0)
	v_readfirstlane_b32 s20, v0
	v_readfirstlane_b32 s21, v1
	s_and_b64 s[20:21], s[20:21], s[16:17]
	s_mul_i32 s15, s21, 24
	s_mul_hi_u32 s21, s20, 24
	s_mul_i32 s20, s20, 24
	s_add_i32 s15, s21, s15
	v_mov_b32_e32 v0, s15
	v_add_co_u32_e32 v4, vcc, s20, v6
	v_addc_co_u32_e32 v5, vcc, v7, v0, vcc
	global_store_dwordx2 v[4:5], v[14:15], off
	s_waitcnt vmcnt(0)
	global_atomic_cmpswap_x2 v[2:3], v8, v[12:15], s[6:7] offset:32 glc
	s_waitcnt vmcnt(0)
	v_cmp_ne_u64_e32 vcc, v[2:3], v[14:15]
	s_and_saveexec_b64 s[20:21], vcc
	s_cbranch_execz .LBB5_1310
; %bb.1308:
	s_mov_b64 s[22:23], 0
.LBB5_1309:                             ; =>This Inner Loop Header: Depth=1
	s_sleep 1
	global_store_dwordx2 v[4:5], v[2:3], off
	v_mov_b32_e32 v0, s16
	v_mov_b32_e32 v1, s17
	s_waitcnt vmcnt(0)
	global_atomic_cmpswap_x2 v[0:1], v8, v[0:3], s[6:7] offset:32 glc
	s_waitcnt vmcnt(0)
	v_cmp_eq_u64_e32 vcc, v[0:1], v[2:3]
	v_mov_b32_e32 v3, v1
	s_or_b64 s[22:23], vcc, s[22:23]
	v_mov_b32_e32 v2, v0
	s_andn2_b64 exec, exec, s[22:23]
	s_cbranch_execnz .LBB5_1309
.LBB5_1310:
	s_or_b64 exec, exec, s[20:21]
	v_mov_b32_e32 v3, 0
	global_load_dwordx2 v[0:1], v3, s[6:7] offset:16
	s_mov_b64 s[20:21], exec
	v_mbcnt_lo_u32_b32 v2, s20, 0
	v_mbcnt_hi_u32_b32 v2, s21, v2
	v_cmp_eq_u32_e32 vcc, 0, v2
	s_and_saveexec_b64 s[22:23], vcc
	s_cbranch_execz .LBB5_1312
; %bb.1311:
	s_bcnt1_i32_b64 s15, s[20:21]
	v_mov_b32_e32 v2, s15
	s_waitcnt vmcnt(0)
	global_atomic_add_x2 v[0:1], v[2:3], off offset:8
.LBB5_1312:
	s_or_b64 exec, exec, s[22:23]
	s_waitcnt vmcnt(0)
	global_load_dwordx2 v[2:3], v[0:1], off offset:16
	s_waitcnt vmcnt(0)
	v_cmp_eq_u64_e32 vcc, 0, v[2:3]
	s_cbranch_vccnz .LBB5_1314
; %bb.1313:
	global_load_dword v0, v[0:1], off offset:24
	v_mov_b32_e32 v1, 0
	s_waitcnt vmcnt(0)
	global_store_dwordx2 v[2:3], v[0:1], off
	v_and_b32_e32 v0, 0xffffff, v0
	v_readfirstlane_b32 m0, v0
	s_sendmsg sendmsg(MSG_INTERRUPT)
.LBB5_1314:
	s_or_b64 exec, exec, s[18:19]
	s_branch .LBB5_1318
.LBB5_1315:                             ;   in Loop: Header=BB5_1318 Depth=1
	s_or_b64 exec, exec, s[18:19]
	v_readfirstlane_b32 s15, v0
	s_cmp_eq_u32 s15, 0
	s_cbranch_scc1 .LBB5_1317
; %bb.1316:                             ;   in Loop: Header=BB5_1318 Depth=1
	s_sleep 1
	s_cbranch_execnz .LBB5_1318
	s_branch .LBB5_1320
.LBB5_1317:
	s_branch .LBB5_1320
.LBB5_1318:                             ; =>This Inner Loop Header: Depth=1
	v_mov_b32_e32 v0, 1
	s_and_saveexec_b64 s[18:19], s[4:5]
	s_cbranch_execz .LBB5_1315
; %bb.1319:                             ;   in Loop: Header=BB5_1318 Depth=1
	global_load_dword v0, v[10:11], off offset:20 glc
	s_waitcnt vmcnt(0)
	buffer_wbinvl1_vol
	v_and_b32_e32 v0, 1, v0
	s_branch .LBB5_1315
.LBB5_1320:
	s_and_saveexec_b64 s[18:19], s[4:5]
	s_cbranch_execz .LBB5_1323
; %bb.1321:
	v_mov_b32_e32 v6, 0
	global_load_dwordx2 v[2:3], v6, s[6:7] offset:40
	global_load_dwordx2 v[7:8], v6, s[6:7] offset:24 glc
	global_load_dwordx2 v[4:5], v6, s[6:7]
	v_mov_b32_e32 v1, s17
	s_mov_b64 s[4:5], 0
	s_waitcnt vmcnt(2)
	v_add_co_u32_e32 v9, vcc, 1, v2
	v_addc_co_u32_e32 v10, vcc, 0, v3, vcc
	v_add_co_u32_e32 v0, vcc, s16, v9
	v_addc_co_u32_e32 v1, vcc, v10, v1, vcc
	v_cmp_eq_u64_e32 vcc, 0, v[0:1]
	v_cndmask_b32_e32 v1, v1, v10, vcc
	v_cndmask_b32_e32 v0, v0, v9, vcc
	v_and_b32_e32 v3, v1, v3
	v_and_b32_e32 v2, v0, v2
	v_mul_lo_u32 v3, v3, 24
	v_mul_hi_u32 v9, v2, 24
	v_mul_lo_u32 v10, v2, 24
	s_waitcnt vmcnt(1)
	v_mov_b32_e32 v2, v7
	v_add_u32_e32 v3, v9, v3
	s_waitcnt vmcnt(0)
	v_add_co_u32_e32 v4, vcc, v4, v10
	v_addc_co_u32_e32 v5, vcc, v5, v3, vcc
	global_store_dwordx2 v[4:5], v[7:8], off
	v_mov_b32_e32 v3, v8
	s_waitcnt vmcnt(0)
	global_atomic_cmpswap_x2 v[2:3], v6, v[0:3], s[6:7] offset:24 glc
	s_waitcnt vmcnt(0)
	v_cmp_ne_u64_e32 vcc, v[2:3], v[7:8]
	s_and_b64 exec, exec, vcc
	s_cbranch_execz .LBB5_1323
.LBB5_1322:                             ; =>This Inner Loop Header: Depth=1
	s_sleep 1
	global_store_dwordx2 v[4:5], v[2:3], off
	s_waitcnt vmcnt(0)
	global_atomic_cmpswap_x2 v[7:8], v6, v[0:3], s[6:7] offset:24 glc
	s_waitcnt vmcnt(0)
	v_cmp_eq_u64_e32 vcc, v[7:8], v[2:3]
	v_mov_b32_e32 v2, v7
	s_or_b64 s[4:5], vcc, s[4:5]
	v_mov_b32_e32 v3, v8
	s_andn2_b64 exec, exec, s[4:5]
	s_cbranch_execnz .LBB5_1322
.LBB5_1323:
	s_or_b64 exec, exec, s[18:19]
	v_readfirstlane_b32 s4, v32
	v_mov_b32_e32 v5, 0
	v_mov_b32_e32 v6, 0
	v_cmp_eq_u32_e64 s[4:5], s4, v32
	s_and_saveexec_b64 s[16:17], s[4:5]
	s_cbranch_execz .LBB5_1329
; %bb.1324:
	v_mov_b32_e32 v0, 0
	global_load_dwordx2 v[3:4], v0, s[6:7] offset:24 glc
	s_waitcnt vmcnt(0)
	buffer_wbinvl1_vol
	global_load_dwordx2 v[1:2], v0, s[6:7] offset:40
	global_load_dwordx2 v[5:6], v0, s[6:7]
	s_waitcnt vmcnt(1)
	v_and_b32_e32 v1, v1, v3
	v_and_b32_e32 v2, v2, v4
	v_mul_lo_u32 v2, v2, 24
	v_mul_hi_u32 v7, v1, 24
	v_mul_lo_u32 v1, v1, 24
	v_add_u32_e32 v2, v7, v2
	s_waitcnt vmcnt(0)
	v_add_co_u32_e32 v1, vcc, v5, v1
	v_addc_co_u32_e32 v2, vcc, v6, v2, vcc
	global_load_dwordx2 v[1:2], v[1:2], off glc
	s_waitcnt vmcnt(0)
	global_atomic_cmpswap_x2 v[5:6], v0, v[1:4], s[6:7] offset:24 glc
	s_waitcnt vmcnt(0)
	buffer_wbinvl1_vol
	v_cmp_ne_u64_e32 vcc, v[5:6], v[3:4]
	s_and_saveexec_b64 s[18:19], vcc
	s_cbranch_execz .LBB5_1328
; %bb.1325:
	s_mov_b64 s[20:21], 0
.LBB5_1326:                             ; =>This Inner Loop Header: Depth=1
	s_sleep 1
	global_load_dwordx2 v[1:2], v0, s[6:7] offset:40
	global_load_dwordx2 v[7:8], v0, s[6:7]
	v_mov_b32_e32 v3, v5
	v_mov_b32_e32 v4, v6
	s_waitcnt vmcnt(1)
	v_and_b32_e32 v1, v1, v3
	s_waitcnt vmcnt(0)
	v_mad_u64_u32 v[5:6], s[22:23], v1, 24, v[7:8]
	v_and_b32_e32 v2, v2, v4
	v_mov_b32_e32 v1, v6
	v_mad_u64_u32 v[1:2], s[22:23], v2, 24, v[1:2]
	v_mov_b32_e32 v6, v1
	global_load_dwordx2 v[1:2], v[5:6], off glc
	s_waitcnt vmcnt(0)
	global_atomic_cmpswap_x2 v[5:6], v0, v[1:4], s[6:7] offset:24 glc
	s_waitcnt vmcnt(0)
	buffer_wbinvl1_vol
	v_cmp_eq_u64_e32 vcc, v[5:6], v[3:4]
	s_or_b64 s[20:21], vcc, s[20:21]
	s_andn2_b64 exec, exec, s[20:21]
	s_cbranch_execnz .LBB5_1326
; %bb.1327:
	s_or_b64 exec, exec, s[20:21]
.LBB5_1328:
	s_or_b64 exec, exec, s[18:19]
.LBB5_1329:
	s_or_b64 exec, exec, s[16:17]
	v_mov_b32_e32 v4, 0
	global_load_dwordx2 v[7:8], v4, s[6:7] offset:40
	global_load_dwordx4 v[0:3], v4, s[6:7]
	v_readfirstlane_b32 s16, v5
	v_readfirstlane_b32 s17, v6
	s_mov_b64 s[18:19], exec
	s_waitcnt vmcnt(1)
	v_readfirstlane_b32 s20, v7
	v_readfirstlane_b32 s21, v8
	s_and_b64 s[20:21], s[16:17], s[20:21]
	s_mul_i32 s15, s21, 24
	s_mul_hi_u32 s22, s20, 24
	s_mul_i32 s23, s20, 24
	s_add_i32 s15, s22, s15
	v_mov_b32_e32 v5, s15
	s_waitcnt vmcnt(0)
	v_add_co_u32_e32 v7, vcc, s23, v0
	v_addc_co_u32_e32 v8, vcc, v1, v5, vcc
	s_and_saveexec_b64 s[22:23], s[4:5]
	s_cbranch_execz .LBB5_1331
; %bb.1330:
	v_mov_b32_e32 v9, s18
	v_mov_b32_e32 v10, s19
	;; [unrolled: 1-line block ×4, first 2 shown]
	global_store_dwordx4 v[7:8], v[9:12], off offset:8
.LBB5_1331:
	s_or_b64 exec, exec, s[22:23]
	s_lshl_b64 s[18:19], s[20:21], 12
	v_mov_b32_e32 v5, s19
	v_add_co_u32_e32 v2, vcc, s18, v2
	v_addc_co_u32_e32 v11, vcc, v3, v5, vcc
	s_mov_b32 s20, 0
	v_mov_b32_e32 v3, 33
	v_mov_b32_e32 v5, v4
	;; [unrolled: 1-line block ×3, first 2 shown]
	v_readfirstlane_b32 s18, v2
	v_readfirstlane_b32 s19, v11
	v_add_co_u32_e32 v9, vcc, v2, v31
	s_mov_b32 s21, s20
	s_mov_b32 s22, s20
	;; [unrolled: 1-line block ×3, first 2 shown]
	s_nop 0
	global_store_dwordx4 v31, v[3:6], s[18:19]
	v_mov_b32_e32 v2, s20
	v_addc_co_u32_e32 v10, vcc, 0, v11, vcc
	v_mov_b32_e32 v3, s21
	v_mov_b32_e32 v4, s22
	;; [unrolled: 1-line block ×3, first 2 shown]
	global_store_dwordx4 v31, v[2:5], s[18:19] offset:16
	global_store_dwordx4 v31, v[2:5], s[18:19] offset:32
	;; [unrolled: 1-line block ×3, first 2 shown]
	s_and_saveexec_b64 s[18:19], s[4:5]
	s_cbranch_execz .LBB5_1339
; %bb.1332:
	v_mov_b32_e32 v6, 0
	global_load_dwordx2 v[13:14], v6, s[6:7] offset:32 glc
	global_load_dwordx2 v[2:3], v6, s[6:7] offset:40
	v_mov_b32_e32 v11, s16
	v_mov_b32_e32 v12, s17
	s_waitcnt vmcnt(0)
	v_readfirstlane_b32 s20, v2
	v_readfirstlane_b32 s21, v3
	s_and_b64 s[20:21], s[20:21], s[16:17]
	s_mul_i32 s15, s21, 24
	s_mul_hi_u32 s21, s20, 24
	s_mul_i32 s20, s20, 24
	s_add_i32 s15, s21, s15
	v_mov_b32_e32 v2, s15
	v_add_co_u32_e32 v4, vcc, s20, v0
	v_addc_co_u32_e32 v5, vcc, v1, v2, vcc
	global_store_dwordx2 v[4:5], v[13:14], off
	s_waitcnt vmcnt(0)
	global_atomic_cmpswap_x2 v[2:3], v6, v[11:14], s[6:7] offset:32 glc
	s_waitcnt vmcnt(0)
	v_cmp_ne_u64_e32 vcc, v[2:3], v[13:14]
	s_and_saveexec_b64 s[20:21], vcc
	s_cbranch_execz .LBB5_1335
; %bb.1333:
	s_mov_b64 s[22:23], 0
.LBB5_1334:                             ; =>This Inner Loop Header: Depth=1
	s_sleep 1
	global_store_dwordx2 v[4:5], v[2:3], off
	v_mov_b32_e32 v0, s16
	v_mov_b32_e32 v1, s17
	s_waitcnt vmcnt(0)
	global_atomic_cmpswap_x2 v[0:1], v6, v[0:3], s[6:7] offset:32 glc
	s_waitcnt vmcnt(0)
	v_cmp_eq_u64_e32 vcc, v[0:1], v[2:3]
	v_mov_b32_e32 v3, v1
	s_or_b64 s[22:23], vcc, s[22:23]
	v_mov_b32_e32 v2, v0
	s_andn2_b64 exec, exec, s[22:23]
	s_cbranch_execnz .LBB5_1334
.LBB5_1335:
	s_or_b64 exec, exec, s[20:21]
	v_mov_b32_e32 v3, 0
	global_load_dwordx2 v[0:1], v3, s[6:7] offset:16
	s_mov_b64 s[20:21], exec
	v_mbcnt_lo_u32_b32 v2, s20, 0
	v_mbcnt_hi_u32_b32 v2, s21, v2
	v_cmp_eq_u32_e32 vcc, 0, v2
	s_and_saveexec_b64 s[22:23], vcc
	s_cbranch_execz .LBB5_1337
; %bb.1336:
	s_bcnt1_i32_b64 s15, s[20:21]
	v_mov_b32_e32 v2, s15
	s_waitcnt vmcnt(0)
	global_atomic_add_x2 v[0:1], v[2:3], off offset:8
.LBB5_1337:
	s_or_b64 exec, exec, s[22:23]
	s_waitcnt vmcnt(0)
	global_load_dwordx2 v[2:3], v[0:1], off offset:16
	s_waitcnt vmcnt(0)
	v_cmp_eq_u64_e32 vcc, 0, v[2:3]
	s_cbranch_vccnz .LBB5_1339
; %bb.1338:
	global_load_dword v0, v[0:1], off offset:24
	v_mov_b32_e32 v1, 0
	s_waitcnt vmcnt(0)
	global_store_dwordx2 v[2:3], v[0:1], off
	v_and_b32_e32 v0, 0xffffff, v0
	v_readfirstlane_b32 m0, v0
	s_sendmsg sendmsg(MSG_INTERRUPT)
.LBB5_1339:
	s_or_b64 exec, exec, s[18:19]
	s_branch .LBB5_1343
.LBB5_1340:                             ;   in Loop: Header=BB5_1343 Depth=1
	s_or_b64 exec, exec, s[18:19]
	v_readfirstlane_b32 s15, v0
	s_cmp_eq_u32 s15, 0
	s_cbranch_scc1 .LBB5_1342
; %bb.1341:                             ;   in Loop: Header=BB5_1343 Depth=1
	s_sleep 1
	s_cbranch_execnz .LBB5_1343
	s_branch .LBB5_1345
.LBB5_1342:
	s_branch .LBB5_1345
.LBB5_1343:                             ; =>This Inner Loop Header: Depth=1
	v_mov_b32_e32 v0, 1
	s_and_saveexec_b64 s[18:19], s[4:5]
	s_cbranch_execz .LBB5_1340
; %bb.1344:                             ;   in Loop: Header=BB5_1343 Depth=1
	global_load_dword v0, v[7:8], off offset:20 glc
	s_waitcnt vmcnt(0)
	buffer_wbinvl1_vol
	v_and_b32_e32 v0, 1, v0
	s_branch .LBB5_1340
.LBB5_1345:
	global_load_dwordx2 v[4:5], v[9:10], off
	s_and_saveexec_b64 s[18:19], s[4:5]
	s_cbranch_execz .LBB5_1348
; %bb.1346:
	v_mov_b32_e32 v8, 0
	global_load_dwordx2 v[2:3], v8, s[6:7] offset:40
	global_load_dwordx2 v[9:10], v8, s[6:7] offset:24 glc
	global_load_dwordx2 v[6:7], v8, s[6:7]
	v_mov_b32_e32 v1, s17
	s_mov_b64 s[4:5], 0
	s_waitcnt vmcnt(2)
	v_add_co_u32_e32 v11, vcc, 1, v2
	v_addc_co_u32_e32 v12, vcc, 0, v3, vcc
	v_add_co_u32_e32 v0, vcc, s16, v11
	v_addc_co_u32_e32 v1, vcc, v12, v1, vcc
	v_cmp_eq_u64_e32 vcc, 0, v[0:1]
	v_cndmask_b32_e32 v1, v1, v12, vcc
	v_cndmask_b32_e32 v0, v0, v11, vcc
	v_and_b32_e32 v3, v1, v3
	v_and_b32_e32 v2, v0, v2
	v_mul_lo_u32 v3, v3, 24
	v_mul_hi_u32 v11, v2, 24
	v_mul_lo_u32 v12, v2, 24
	s_waitcnt vmcnt(1)
	v_mov_b32_e32 v2, v9
	v_add_u32_e32 v3, v11, v3
	s_waitcnt vmcnt(0)
	v_add_co_u32_e32 v6, vcc, v6, v12
	v_addc_co_u32_e32 v7, vcc, v7, v3, vcc
	global_store_dwordx2 v[6:7], v[9:10], off
	v_mov_b32_e32 v3, v10
	s_waitcnt vmcnt(0)
	global_atomic_cmpswap_x2 v[2:3], v8, v[0:3], s[6:7] offset:24 glc
	s_waitcnt vmcnt(0)
	v_cmp_ne_u64_e32 vcc, v[2:3], v[9:10]
	s_and_b64 exec, exec, vcc
	s_cbranch_execz .LBB5_1348
.LBB5_1347:                             ; =>This Inner Loop Header: Depth=1
	s_sleep 1
	global_store_dwordx2 v[6:7], v[2:3], off
	s_waitcnt vmcnt(0)
	global_atomic_cmpswap_x2 v[9:10], v8, v[0:3], s[6:7] offset:24 glc
	s_waitcnt vmcnt(0)
	v_cmp_eq_u64_e32 vcc, v[9:10], v[2:3]
	v_mov_b32_e32 v2, v9
	s_or_b64 s[4:5], vcc, s[4:5]
	v_mov_b32_e32 v3, v10
	s_andn2_b64 exec, exec, s[4:5]
	s_cbranch_execnz .LBB5_1347
.LBB5_1348:
	s_or_b64 exec, exec, s[18:19]
	s_and_b64 vcc, exec, s[10:11]
	s_cbranch_vccz .LBB5_1433
; %bb.1349:
	s_waitcnt vmcnt(0)
	v_and_b32_e32 v29, 2, v4
	v_mov_b32_e32 v26, 0
	v_and_b32_e32 v0, -3, v4
	v_mov_b32_e32 v1, v5
	s_mov_b64 s[16:17], 3
	v_mov_b32_e32 v8, 2
	v_mov_b32_e32 v9, 1
	s_getpc_b64 s[10:11]
	s_add_u32 s10, s10, .str.5@rel32@lo+4
	s_addc_u32 s11, s11, .str.5@rel32@hi+12
	s_branch .LBB5_1351
.LBB5_1350:                             ;   in Loop: Header=BB5_1351 Depth=1
	s_or_b64 exec, exec, s[22:23]
	s_sub_u32 s16, s16, s18
	s_subb_u32 s17, s17, s19
	s_add_u32 s10, s10, s18
	s_addc_u32 s11, s11, s19
	s_cmp_lg_u64 s[16:17], 0
	s_cbranch_scc0 .LBB5_1432
.LBB5_1351:                             ; =>This Loop Header: Depth=1
                                        ;     Child Loop BB5_1354 Depth 2
                                        ;     Child Loop BB5_1361 Depth 2
	;; [unrolled: 1-line block ×11, first 2 shown]
	v_cmp_lt_u64_e64 s[4:5], s[16:17], 56
	v_cmp_gt_u64_e64 s[20:21], s[16:17], 7
	s_and_b64 s[4:5], s[4:5], exec
	s_cselect_b32 s19, s17, 0
	s_cselect_b32 s18, s16, 56
	s_and_b64 vcc, exec, s[20:21]
	s_cbranch_vccnz .LBB5_1356
; %bb.1352:                             ;   in Loop: Header=BB5_1351 Depth=1
	s_waitcnt vmcnt(0)
	v_mov_b32_e32 v2, 0
	s_cmp_eq_u64 s[16:17], 0
	v_mov_b32_e32 v3, 0
	s_mov_b64 s[4:5], 0
	s_cbranch_scc1 .LBB5_1355
; %bb.1353:                             ;   in Loop: Header=BB5_1351 Depth=1
	v_mov_b32_e32 v2, 0
	s_lshl_b64 s[20:21], s[18:19], 3
	s_mov_b64 s[22:23], 0
	v_mov_b32_e32 v3, 0
	s_mov_b64 s[24:25], s[10:11]
.LBB5_1354:                             ;   Parent Loop BB5_1351 Depth=1
                                        ; =>  This Inner Loop Header: Depth=2
	global_load_ubyte v6, v26, s[24:25]
	s_waitcnt vmcnt(0)
	v_and_b32_e32 v25, 0xffff, v6
	v_lshlrev_b64 v[6:7], s22, v[25:26]
	s_add_u32 s22, s22, 8
	s_addc_u32 s23, s23, 0
	s_add_u32 s24, s24, 1
	s_addc_u32 s25, s25, 0
	v_or_b32_e32 v2, v6, v2
	s_cmp_lg_u32 s20, s22
	v_or_b32_e32 v3, v7, v3
	s_cbranch_scc1 .LBB5_1354
.LBB5_1355:                             ;   in Loop: Header=BB5_1351 Depth=1
	s_mov_b32 s15, 0
	s_andn2_b64 vcc, exec, s[4:5]
	s_mov_b64 s[4:5], s[10:11]
	s_cbranch_vccz .LBB5_1357
	s_branch .LBB5_1358
.LBB5_1356:                             ;   in Loop: Header=BB5_1351 Depth=1
                                        ; implicit-def: $vgpr2_vgpr3
                                        ; implicit-def: $sgpr15
	s_mov_b64 s[4:5], s[10:11]
.LBB5_1357:                             ;   in Loop: Header=BB5_1351 Depth=1
	global_load_dwordx2 v[2:3], v26, s[10:11]
	s_add_i32 s15, s18, -8
	s_add_u32 s4, s10, 8
	s_addc_u32 s5, s11, 0
.LBB5_1358:                             ;   in Loop: Header=BB5_1351 Depth=1
	s_cmp_gt_u32 s15, 7
	s_cbranch_scc1 .LBB5_1362
; %bb.1359:                             ;   in Loop: Header=BB5_1351 Depth=1
	s_cmp_eq_u32 s15, 0
	s_cbranch_scc1 .LBB5_1363
; %bb.1360:                             ;   in Loop: Header=BB5_1351 Depth=1
	v_mov_b32_e32 v10, 0
	s_mov_b64 s[20:21], 0
	v_mov_b32_e32 v11, 0
	s_mov_b64 s[22:23], 0
.LBB5_1361:                             ;   Parent Loop BB5_1351 Depth=1
                                        ; =>  This Inner Loop Header: Depth=2
	s_add_u32 s24, s4, s22
	s_addc_u32 s25, s5, s23
	global_load_ubyte v6, v26, s[24:25]
	s_add_u32 s22, s22, 1
	s_addc_u32 s23, s23, 0
	s_waitcnt vmcnt(0)
	v_and_b32_e32 v25, 0xffff, v6
	v_lshlrev_b64 v[6:7], s20, v[25:26]
	s_add_u32 s20, s20, 8
	s_addc_u32 s21, s21, 0
	v_or_b32_e32 v10, v6, v10
	s_cmp_lg_u32 s15, s22
	v_or_b32_e32 v11, v7, v11
	s_cbranch_scc1 .LBB5_1361
	s_branch .LBB5_1364
.LBB5_1362:                             ;   in Loop: Header=BB5_1351 Depth=1
                                        ; implicit-def: $vgpr10_vgpr11
                                        ; implicit-def: $sgpr24
	s_branch .LBB5_1365
.LBB5_1363:                             ;   in Loop: Header=BB5_1351 Depth=1
	v_mov_b32_e32 v10, 0
	v_mov_b32_e32 v11, 0
.LBB5_1364:                             ;   in Loop: Header=BB5_1351 Depth=1
	s_mov_b32 s24, 0
	s_cbranch_execnz .LBB5_1366
.LBB5_1365:                             ;   in Loop: Header=BB5_1351 Depth=1
	global_load_dwordx2 v[10:11], v26, s[4:5]
	s_add_i32 s24, s15, -8
	s_add_u32 s4, s4, 8
	s_addc_u32 s5, s5, 0
.LBB5_1366:                             ;   in Loop: Header=BB5_1351 Depth=1
	s_cmp_gt_u32 s24, 7
	s_cbranch_scc1 .LBB5_1370
; %bb.1367:                             ;   in Loop: Header=BB5_1351 Depth=1
	s_cmp_eq_u32 s24, 0
	s_cbranch_scc1 .LBB5_1371
; %bb.1368:                             ;   in Loop: Header=BB5_1351 Depth=1
	v_mov_b32_e32 v12, 0
	s_mov_b64 s[20:21], 0
	v_mov_b32_e32 v13, 0
	s_mov_b64 s[22:23], 0
.LBB5_1369:                             ;   Parent Loop BB5_1351 Depth=1
                                        ; =>  This Inner Loop Header: Depth=2
	s_add_u32 s26, s4, s22
	s_addc_u32 s27, s5, s23
	global_load_ubyte v6, v26, s[26:27]
	s_add_u32 s22, s22, 1
	s_addc_u32 s23, s23, 0
	s_waitcnt vmcnt(0)
	v_and_b32_e32 v25, 0xffff, v6
	v_lshlrev_b64 v[6:7], s20, v[25:26]
	s_add_u32 s20, s20, 8
	s_addc_u32 s21, s21, 0
	v_or_b32_e32 v12, v6, v12
	s_cmp_lg_u32 s24, s22
	v_or_b32_e32 v13, v7, v13
	s_cbranch_scc1 .LBB5_1369
	s_branch .LBB5_1372
.LBB5_1370:                             ;   in Loop: Header=BB5_1351 Depth=1
                                        ; implicit-def: $sgpr15
	s_branch .LBB5_1373
.LBB5_1371:                             ;   in Loop: Header=BB5_1351 Depth=1
	v_mov_b32_e32 v12, 0
	v_mov_b32_e32 v13, 0
.LBB5_1372:                             ;   in Loop: Header=BB5_1351 Depth=1
	s_mov_b32 s15, 0
	s_cbranch_execnz .LBB5_1374
.LBB5_1373:                             ;   in Loop: Header=BB5_1351 Depth=1
	global_load_dwordx2 v[12:13], v26, s[4:5]
	s_add_i32 s15, s24, -8
	s_add_u32 s4, s4, 8
	s_addc_u32 s5, s5, 0
.LBB5_1374:                             ;   in Loop: Header=BB5_1351 Depth=1
	s_cmp_gt_u32 s15, 7
	s_cbranch_scc1 .LBB5_1378
; %bb.1375:                             ;   in Loop: Header=BB5_1351 Depth=1
	s_cmp_eq_u32 s15, 0
	s_cbranch_scc1 .LBB5_1379
; %bb.1376:                             ;   in Loop: Header=BB5_1351 Depth=1
	v_mov_b32_e32 v14, 0
	s_mov_b64 s[20:21], 0
	v_mov_b32_e32 v15, 0
	s_mov_b64 s[22:23], 0
.LBB5_1377:                             ;   Parent Loop BB5_1351 Depth=1
                                        ; =>  This Inner Loop Header: Depth=2
	s_add_u32 s24, s4, s22
	s_addc_u32 s25, s5, s23
	global_load_ubyte v6, v26, s[24:25]
	s_add_u32 s22, s22, 1
	s_addc_u32 s23, s23, 0
	s_waitcnt vmcnt(0)
	v_and_b32_e32 v25, 0xffff, v6
	v_lshlrev_b64 v[6:7], s20, v[25:26]
	s_add_u32 s20, s20, 8
	s_addc_u32 s21, s21, 0
	v_or_b32_e32 v14, v6, v14
	s_cmp_lg_u32 s15, s22
	v_or_b32_e32 v15, v7, v15
	s_cbranch_scc1 .LBB5_1377
	s_branch .LBB5_1380
.LBB5_1378:                             ;   in Loop: Header=BB5_1351 Depth=1
                                        ; implicit-def: $vgpr14_vgpr15
                                        ; implicit-def: $sgpr24
	s_branch .LBB5_1381
.LBB5_1379:                             ;   in Loop: Header=BB5_1351 Depth=1
	v_mov_b32_e32 v14, 0
	v_mov_b32_e32 v15, 0
.LBB5_1380:                             ;   in Loop: Header=BB5_1351 Depth=1
	s_mov_b32 s24, 0
	s_cbranch_execnz .LBB5_1382
.LBB5_1381:                             ;   in Loop: Header=BB5_1351 Depth=1
	global_load_dwordx2 v[14:15], v26, s[4:5]
	s_add_i32 s24, s15, -8
	s_add_u32 s4, s4, 8
	s_addc_u32 s5, s5, 0
.LBB5_1382:                             ;   in Loop: Header=BB5_1351 Depth=1
	s_cmp_gt_u32 s24, 7
	s_cbranch_scc1 .LBB5_1386
; %bb.1383:                             ;   in Loop: Header=BB5_1351 Depth=1
	s_cmp_eq_u32 s24, 0
	s_cbranch_scc1 .LBB5_1387
; %bb.1384:                             ;   in Loop: Header=BB5_1351 Depth=1
	v_mov_b32_e32 v16, 0
	s_mov_b64 s[20:21], 0
	v_mov_b32_e32 v17, 0
	s_mov_b64 s[22:23], 0
.LBB5_1385:                             ;   Parent Loop BB5_1351 Depth=1
                                        ; =>  This Inner Loop Header: Depth=2
	s_add_u32 s26, s4, s22
	s_addc_u32 s27, s5, s23
	global_load_ubyte v6, v26, s[26:27]
	s_add_u32 s22, s22, 1
	s_addc_u32 s23, s23, 0
	s_waitcnt vmcnt(0)
	v_and_b32_e32 v25, 0xffff, v6
	v_lshlrev_b64 v[6:7], s20, v[25:26]
	s_add_u32 s20, s20, 8
	s_addc_u32 s21, s21, 0
	v_or_b32_e32 v16, v6, v16
	s_cmp_lg_u32 s24, s22
	v_or_b32_e32 v17, v7, v17
	s_cbranch_scc1 .LBB5_1385
	s_branch .LBB5_1388
.LBB5_1386:                             ;   in Loop: Header=BB5_1351 Depth=1
                                        ; implicit-def: $sgpr15
	s_branch .LBB5_1389
.LBB5_1387:                             ;   in Loop: Header=BB5_1351 Depth=1
	v_mov_b32_e32 v16, 0
	v_mov_b32_e32 v17, 0
.LBB5_1388:                             ;   in Loop: Header=BB5_1351 Depth=1
	s_mov_b32 s15, 0
	s_cbranch_execnz .LBB5_1390
.LBB5_1389:                             ;   in Loop: Header=BB5_1351 Depth=1
	global_load_dwordx2 v[16:17], v26, s[4:5]
	s_add_i32 s15, s24, -8
	s_add_u32 s4, s4, 8
	s_addc_u32 s5, s5, 0
.LBB5_1390:                             ;   in Loop: Header=BB5_1351 Depth=1
	s_cmp_gt_u32 s15, 7
	s_cbranch_scc1 .LBB5_1394
; %bb.1391:                             ;   in Loop: Header=BB5_1351 Depth=1
	s_cmp_eq_u32 s15, 0
	s_cbranch_scc1 .LBB5_1395
; %bb.1392:                             ;   in Loop: Header=BB5_1351 Depth=1
	v_mov_b32_e32 v18, 0
	s_mov_b64 s[20:21], 0
	v_mov_b32_e32 v19, 0
	s_mov_b64 s[22:23], 0
.LBB5_1393:                             ;   Parent Loop BB5_1351 Depth=1
                                        ; =>  This Inner Loop Header: Depth=2
	s_add_u32 s24, s4, s22
	s_addc_u32 s25, s5, s23
	global_load_ubyte v6, v26, s[24:25]
	s_add_u32 s22, s22, 1
	s_addc_u32 s23, s23, 0
	s_waitcnt vmcnt(0)
	v_and_b32_e32 v25, 0xffff, v6
	v_lshlrev_b64 v[6:7], s20, v[25:26]
	s_add_u32 s20, s20, 8
	s_addc_u32 s21, s21, 0
	v_or_b32_e32 v18, v6, v18
	s_cmp_lg_u32 s15, s22
	v_or_b32_e32 v19, v7, v19
	s_cbranch_scc1 .LBB5_1393
	s_branch .LBB5_1396
.LBB5_1394:                             ;   in Loop: Header=BB5_1351 Depth=1
                                        ; implicit-def: $vgpr18_vgpr19
                                        ; implicit-def: $sgpr24
	s_branch .LBB5_1397
.LBB5_1395:                             ;   in Loop: Header=BB5_1351 Depth=1
	v_mov_b32_e32 v18, 0
	v_mov_b32_e32 v19, 0
.LBB5_1396:                             ;   in Loop: Header=BB5_1351 Depth=1
	s_mov_b32 s24, 0
	s_cbranch_execnz .LBB5_1398
.LBB5_1397:                             ;   in Loop: Header=BB5_1351 Depth=1
	global_load_dwordx2 v[18:19], v26, s[4:5]
	s_add_i32 s24, s15, -8
	s_add_u32 s4, s4, 8
	s_addc_u32 s5, s5, 0
.LBB5_1398:                             ;   in Loop: Header=BB5_1351 Depth=1
	s_cmp_gt_u32 s24, 7
	s_cbranch_scc1 .LBB5_1402
; %bb.1399:                             ;   in Loop: Header=BB5_1351 Depth=1
	s_cmp_eq_u32 s24, 0
	s_cbranch_scc1 .LBB5_1403
; %bb.1400:                             ;   in Loop: Header=BB5_1351 Depth=1
	v_mov_b32_e32 v20, 0
	s_mov_b64 s[20:21], 0
	v_mov_b32_e32 v21, 0
	s_mov_b64 s[22:23], s[4:5]
.LBB5_1401:                             ;   Parent Loop BB5_1351 Depth=1
                                        ; =>  This Inner Loop Header: Depth=2
	global_load_ubyte v6, v26, s[22:23]
	s_add_i32 s24, s24, -1
	s_waitcnt vmcnt(0)
	v_and_b32_e32 v25, 0xffff, v6
	v_lshlrev_b64 v[6:7], s20, v[25:26]
	s_add_u32 s20, s20, 8
	s_addc_u32 s21, s21, 0
	s_add_u32 s22, s22, 1
	s_addc_u32 s23, s23, 0
	v_or_b32_e32 v20, v6, v20
	s_cmp_lg_u32 s24, 0
	v_or_b32_e32 v21, v7, v21
	s_cbranch_scc1 .LBB5_1401
	s_branch .LBB5_1404
.LBB5_1402:                             ;   in Loop: Header=BB5_1351 Depth=1
	s_branch .LBB5_1405
.LBB5_1403:                             ;   in Loop: Header=BB5_1351 Depth=1
	v_mov_b32_e32 v20, 0
	v_mov_b32_e32 v21, 0
.LBB5_1404:                             ;   in Loop: Header=BB5_1351 Depth=1
	s_cbranch_execnz .LBB5_1406
.LBB5_1405:                             ;   in Loop: Header=BB5_1351 Depth=1
	global_load_dwordx2 v[20:21], v26, s[4:5]
.LBB5_1406:                             ;   in Loop: Header=BB5_1351 Depth=1
	v_readfirstlane_b32 s4, v32
	v_mov_b32_e32 v6, 0
	v_mov_b32_e32 v7, 0
	v_cmp_eq_u32_e64 s[4:5], s4, v32
	s_and_saveexec_b64 s[20:21], s[4:5]
	s_cbranch_execz .LBB5_1412
; %bb.1407:                             ;   in Loop: Header=BB5_1351 Depth=1
	global_load_dwordx2 v[24:25], v26, s[6:7] offset:24 glc
	s_waitcnt vmcnt(0)
	buffer_wbinvl1_vol
	global_load_dwordx2 v[6:7], v26, s[6:7] offset:40
	global_load_dwordx2 v[22:23], v26, s[6:7]
	s_waitcnt vmcnt(1)
	v_and_b32_e32 v6, v6, v24
	v_and_b32_e32 v7, v7, v25
	v_mul_lo_u32 v7, v7, 24
	v_mul_hi_u32 v27, v6, 24
	v_mul_lo_u32 v6, v6, 24
	v_add_u32_e32 v7, v27, v7
	s_waitcnt vmcnt(0)
	v_add_co_u32_e32 v6, vcc, v22, v6
	v_addc_co_u32_e32 v7, vcc, v23, v7, vcc
	global_load_dwordx2 v[22:23], v[6:7], off glc
	s_waitcnt vmcnt(0)
	global_atomic_cmpswap_x2 v[6:7], v26, v[22:25], s[6:7] offset:24 glc
	s_waitcnt vmcnt(0)
	buffer_wbinvl1_vol
	v_cmp_ne_u64_e32 vcc, v[6:7], v[24:25]
	s_and_saveexec_b64 s[22:23], vcc
	s_cbranch_execz .LBB5_1411
; %bb.1408:                             ;   in Loop: Header=BB5_1351 Depth=1
	s_mov_b64 s[24:25], 0
.LBB5_1409:                             ;   Parent Loop BB5_1351 Depth=1
                                        ; =>  This Inner Loop Header: Depth=2
	s_sleep 1
	global_load_dwordx2 v[22:23], v26, s[6:7] offset:40
	global_load_dwordx2 v[27:28], v26, s[6:7]
	v_mov_b32_e32 v25, v7
	v_mov_b32_e32 v24, v6
	s_waitcnt vmcnt(1)
	v_and_b32_e32 v6, v22, v24
	s_waitcnt vmcnt(0)
	v_mad_u64_u32 v[6:7], s[26:27], v6, 24, v[27:28]
	v_and_b32_e32 v22, v23, v25
	v_mad_u64_u32 v[22:23], s[26:27], v22, 24, v[7:8]
	v_mov_b32_e32 v7, v22
	global_load_dwordx2 v[22:23], v[6:7], off glc
	s_waitcnt vmcnt(0)
	global_atomic_cmpswap_x2 v[6:7], v26, v[22:25], s[6:7] offset:24 glc
	s_waitcnt vmcnt(0)
	buffer_wbinvl1_vol
	v_cmp_eq_u64_e32 vcc, v[6:7], v[24:25]
	s_or_b64 s[24:25], vcc, s[24:25]
	s_andn2_b64 exec, exec, s[24:25]
	s_cbranch_execnz .LBB5_1409
; %bb.1410:                             ;   in Loop: Header=BB5_1351 Depth=1
	s_or_b64 exec, exec, s[24:25]
.LBB5_1411:                             ;   in Loop: Header=BB5_1351 Depth=1
	s_or_b64 exec, exec, s[22:23]
.LBB5_1412:                             ;   in Loop: Header=BB5_1351 Depth=1
	s_or_b64 exec, exec, s[20:21]
	global_load_dwordx2 v[27:28], v26, s[6:7] offset:40
	global_load_dwordx4 v[22:25], v26, s[6:7]
	v_readfirstlane_b32 s20, v6
	v_readfirstlane_b32 s21, v7
	s_mov_b64 s[22:23], exec
	s_waitcnt vmcnt(1)
	v_readfirstlane_b32 s24, v27
	v_readfirstlane_b32 s25, v28
	s_and_b64 s[24:25], s[20:21], s[24:25]
	s_mul_i32 s15, s25, 24
	s_mul_hi_u32 s26, s24, 24
	s_mul_i32 s27, s24, 24
	s_add_i32 s15, s26, s15
	v_mov_b32_e32 v6, s15
	s_waitcnt vmcnt(0)
	v_add_co_u32_e32 v27, vcc, s27, v22
	v_addc_co_u32_e32 v28, vcc, v23, v6, vcc
	s_and_saveexec_b64 s[26:27], s[4:5]
	s_cbranch_execz .LBB5_1414
; %bb.1413:                             ;   in Loop: Header=BB5_1351 Depth=1
	v_mov_b32_e32 v6, s22
	v_mov_b32_e32 v7, s23
	global_store_dwordx4 v[27:28], v[6:9], off offset:8
.LBB5_1414:                             ;   in Loop: Header=BB5_1351 Depth=1
	s_or_b64 exec, exec, s[26:27]
	s_lshl_b64 s[22:23], s[24:25], 12
	v_mov_b32_e32 v6, s23
	v_add_co_u32_e32 v24, vcc, s22, v24
	v_addc_co_u32_e32 v30, vcc, v25, v6, vcc
	v_cmp_gt_u64_e64 vcc, s[16:17], 56
	v_or_b32_e32 v7, v0, v29
	s_lshl_b32 s15, s18, 2
	v_cndmask_b32_e32 v0, v7, v0, vcc
	s_add_i32 s15, s15, 28
	v_or_b32_e32 v6, 0, v1
	s_and_b32 s15, s15, 0x1e0
	v_and_b32_e32 v0, 0xffffff1f, v0
	v_cndmask_b32_e32 v1, v6, v1, vcc
	v_or_b32_e32 v0, s15, v0
	v_readfirstlane_b32 s22, v24
	v_readfirstlane_b32 s23, v30
	s_nop 4
	global_store_dwordx4 v31, v[0:3], s[22:23]
	global_store_dwordx4 v31, v[10:13], s[22:23] offset:16
	global_store_dwordx4 v31, v[14:17], s[22:23] offset:32
	;; [unrolled: 1-line block ×3, first 2 shown]
	s_and_saveexec_b64 s[22:23], s[4:5]
	s_cbranch_execz .LBB5_1422
; %bb.1415:                             ;   in Loop: Header=BB5_1351 Depth=1
	global_load_dwordx2 v[12:13], v26, s[6:7] offset:32 glc
	global_load_dwordx2 v[0:1], v26, s[6:7] offset:40
	v_mov_b32_e32 v10, s20
	v_mov_b32_e32 v11, s21
	s_waitcnt vmcnt(0)
	v_readfirstlane_b32 s24, v0
	v_readfirstlane_b32 s25, v1
	s_and_b64 s[24:25], s[24:25], s[20:21]
	s_mul_i32 s15, s25, 24
	s_mul_hi_u32 s25, s24, 24
	s_mul_i32 s24, s24, 24
	s_add_i32 s15, s25, s15
	v_mov_b32_e32 v0, s15
	v_add_co_u32_e32 v6, vcc, s24, v22
	v_addc_co_u32_e32 v7, vcc, v23, v0, vcc
	global_store_dwordx2 v[6:7], v[12:13], off
	s_waitcnt vmcnt(0)
	global_atomic_cmpswap_x2 v[2:3], v26, v[10:13], s[6:7] offset:32 glc
	s_waitcnt vmcnt(0)
	v_cmp_ne_u64_e32 vcc, v[2:3], v[12:13]
	s_and_saveexec_b64 s[24:25], vcc
	s_cbranch_execz .LBB5_1418
; %bb.1416:                             ;   in Loop: Header=BB5_1351 Depth=1
	s_mov_b64 s[26:27], 0
.LBB5_1417:                             ;   Parent Loop BB5_1351 Depth=1
                                        ; =>  This Inner Loop Header: Depth=2
	s_sleep 1
	global_store_dwordx2 v[6:7], v[2:3], off
	v_mov_b32_e32 v0, s20
	v_mov_b32_e32 v1, s21
	s_waitcnt vmcnt(0)
	global_atomic_cmpswap_x2 v[0:1], v26, v[0:3], s[6:7] offset:32 glc
	s_waitcnt vmcnt(0)
	v_cmp_eq_u64_e32 vcc, v[0:1], v[2:3]
	v_mov_b32_e32 v3, v1
	s_or_b64 s[26:27], vcc, s[26:27]
	v_mov_b32_e32 v2, v0
	s_andn2_b64 exec, exec, s[26:27]
	s_cbranch_execnz .LBB5_1417
.LBB5_1418:                             ;   in Loop: Header=BB5_1351 Depth=1
	s_or_b64 exec, exec, s[24:25]
	global_load_dwordx2 v[0:1], v26, s[6:7] offset:16
	s_mov_b64 s[26:27], exec
	v_mbcnt_lo_u32_b32 v2, s26, 0
	v_mbcnt_hi_u32_b32 v2, s27, v2
	v_cmp_eq_u32_e32 vcc, 0, v2
	s_and_saveexec_b64 s[24:25], vcc
	s_cbranch_execz .LBB5_1420
; %bb.1419:                             ;   in Loop: Header=BB5_1351 Depth=1
	s_bcnt1_i32_b64 s15, s[26:27]
	v_mov_b32_e32 v25, s15
	s_waitcnt vmcnt(0)
	global_atomic_add_x2 v[0:1], v[25:26], off offset:8
.LBB5_1420:                             ;   in Loop: Header=BB5_1351 Depth=1
	s_or_b64 exec, exec, s[24:25]
	s_waitcnt vmcnt(0)
	global_load_dwordx2 v[2:3], v[0:1], off offset:16
	s_waitcnt vmcnt(0)
	v_cmp_eq_u64_e32 vcc, 0, v[2:3]
	s_cbranch_vccnz .LBB5_1422
; %bb.1421:                             ;   in Loop: Header=BB5_1351 Depth=1
	global_load_dword v25, v[0:1], off offset:24
	s_waitcnt vmcnt(0)
	v_and_b32_e32 v0, 0xffffff, v25
	v_readfirstlane_b32 m0, v0
	global_store_dwordx2 v[2:3], v[25:26], off
	s_sendmsg sendmsg(MSG_INTERRUPT)
.LBB5_1422:                             ;   in Loop: Header=BB5_1351 Depth=1
	s_or_b64 exec, exec, s[22:23]
	v_add_co_u32_e32 v0, vcc, v24, v31
	v_addc_co_u32_e32 v1, vcc, 0, v30, vcc
	s_branch .LBB5_1426
.LBB5_1423:                             ;   in Loop: Header=BB5_1426 Depth=2
	s_or_b64 exec, exec, s[22:23]
	v_readfirstlane_b32 s15, v2
	s_cmp_eq_u32 s15, 0
	s_cbranch_scc1 .LBB5_1425
; %bb.1424:                             ;   in Loop: Header=BB5_1426 Depth=2
	s_sleep 1
	s_cbranch_execnz .LBB5_1426
	s_branch .LBB5_1428
.LBB5_1425:                             ;   in Loop: Header=BB5_1351 Depth=1
	s_branch .LBB5_1428
.LBB5_1426:                             ;   Parent Loop BB5_1351 Depth=1
                                        ; =>  This Inner Loop Header: Depth=2
	v_mov_b32_e32 v2, 1
	s_and_saveexec_b64 s[22:23], s[4:5]
	s_cbranch_execz .LBB5_1423
; %bb.1427:                             ;   in Loop: Header=BB5_1426 Depth=2
	global_load_dword v2, v[27:28], off offset:20 glc
	s_waitcnt vmcnt(0)
	buffer_wbinvl1_vol
	v_and_b32_e32 v2, 1, v2
	s_branch .LBB5_1423
.LBB5_1428:                             ;   in Loop: Header=BB5_1351 Depth=1
	global_load_dwordx4 v[0:3], v[0:1], off
	s_and_saveexec_b64 s[22:23], s[4:5]
	s_cbranch_execz .LBB5_1350
; %bb.1429:                             ;   in Loop: Header=BB5_1351 Depth=1
	global_load_dwordx2 v[2:3], v26, s[6:7] offset:40
	global_load_dwordx2 v[6:7], v26, s[6:7] offset:24 glc
	global_load_dwordx2 v[13:14], v26, s[6:7]
	v_mov_b32_e32 v11, s21
	s_waitcnt vmcnt(2)
	v_add_co_u32_e32 v12, vcc, 1, v2
	v_addc_co_u32_e32 v15, vcc, 0, v3, vcc
	v_add_co_u32_e32 v10, vcc, s20, v12
	v_addc_co_u32_e32 v11, vcc, v15, v11, vcc
	v_cmp_eq_u64_e32 vcc, 0, v[10:11]
	v_cndmask_b32_e32 v11, v11, v15, vcc
	v_cndmask_b32_e32 v10, v10, v12, vcc
	v_and_b32_e32 v3, v11, v3
	v_and_b32_e32 v2, v10, v2
	v_mul_lo_u32 v3, v3, 24
	v_mul_hi_u32 v15, v2, 24
	v_mul_lo_u32 v2, v2, 24
	s_waitcnt vmcnt(1)
	v_mov_b32_e32 v12, v6
	v_add_u32_e32 v3, v15, v3
	s_waitcnt vmcnt(0)
	v_add_co_u32_e32 v2, vcc, v13, v2
	v_addc_co_u32_e32 v3, vcc, v14, v3, vcc
	global_store_dwordx2 v[2:3], v[6:7], off
	v_mov_b32_e32 v13, v7
	s_waitcnt vmcnt(0)
	global_atomic_cmpswap_x2 v[12:13], v26, v[10:13], s[6:7] offset:24 glc
	s_waitcnt vmcnt(0)
	v_cmp_ne_u64_e32 vcc, v[12:13], v[6:7]
	s_and_b64 exec, exec, vcc
	s_cbranch_execz .LBB5_1350
; %bb.1430:                             ;   in Loop: Header=BB5_1351 Depth=1
	s_mov_b64 s[4:5], 0
.LBB5_1431:                             ;   Parent Loop BB5_1351 Depth=1
                                        ; =>  This Inner Loop Header: Depth=2
	s_sleep 1
	global_store_dwordx2 v[2:3], v[12:13], off
	s_waitcnt vmcnt(0)
	global_atomic_cmpswap_x2 v[6:7], v26, v[10:13], s[6:7] offset:24 glc
	s_waitcnt vmcnt(0)
	v_cmp_eq_u64_e32 vcc, v[6:7], v[12:13]
	v_mov_b32_e32 v13, v7
	s_or_b64 s[4:5], vcc, s[4:5]
	v_mov_b32_e32 v12, v6
	s_andn2_b64 exec, exec, s[4:5]
	s_cbranch_execnz .LBB5_1431
	s_branch .LBB5_1350
.LBB5_1432:
	s_branch .LBB5_1460
.LBB5_1433:
                                        ; implicit-def: $vgpr0_vgpr1
	s_cbranch_execz .LBB5_1460
; %bb.1434:
	v_readfirstlane_b32 s4, v32
	v_mov_b32_e32 v7, 0
	v_mov_b32_e32 v8, 0
	v_cmp_eq_u32_e64 s[4:5], s4, v32
	s_and_saveexec_b64 s[10:11], s[4:5]
	s_cbranch_execz .LBB5_1440
; %bb.1435:
	s_waitcnt vmcnt(0)
	v_mov_b32_e32 v0, 0
	global_load_dwordx2 v[9:10], v0, s[6:7] offset:24 glc
	s_waitcnt vmcnt(0)
	buffer_wbinvl1_vol
	global_load_dwordx2 v[1:2], v0, s[6:7] offset:40
	global_load_dwordx2 v[6:7], v0, s[6:7]
	s_waitcnt vmcnt(1)
	v_and_b32_e32 v1, v1, v9
	v_and_b32_e32 v2, v2, v10
	v_mul_lo_u32 v2, v2, 24
	v_mul_hi_u32 v3, v1, 24
	v_mul_lo_u32 v1, v1, 24
	v_add_u32_e32 v2, v3, v2
	s_waitcnt vmcnt(0)
	v_add_co_u32_e32 v1, vcc, v6, v1
	v_addc_co_u32_e32 v2, vcc, v7, v2, vcc
	global_load_dwordx2 v[7:8], v[1:2], off glc
	s_waitcnt vmcnt(0)
	global_atomic_cmpswap_x2 v[7:8], v0, v[7:10], s[6:7] offset:24 glc
	s_waitcnt vmcnt(0)
	buffer_wbinvl1_vol
	v_cmp_ne_u64_e32 vcc, v[7:8], v[9:10]
	s_and_saveexec_b64 s[16:17], vcc
	s_cbranch_execz .LBB5_1439
; %bb.1436:
	s_mov_b64 s[18:19], 0
.LBB5_1437:                             ; =>This Inner Loop Header: Depth=1
	s_sleep 1
	global_load_dwordx2 v[1:2], v0, s[6:7] offset:40
	global_load_dwordx2 v[11:12], v0, s[6:7]
	v_mov_b32_e32 v10, v8
	v_mov_b32_e32 v9, v7
	s_waitcnt vmcnt(1)
	v_and_b32_e32 v1, v1, v9
	s_waitcnt vmcnt(0)
	v_mad_u64_u32 v[6:7], s[20:21], v1, 24, v[11:12]
	v_and_b32_e32 v2, v2, v10
	v_mov_b32_e32 v1, v7
	v_mad_u64_u32 v[1:2], s[20:21], v2, 24, v[1:2]
	v_mov_b32_e32 v7, v1
	global_load_dwordx2 v[7:8], v[6:7], off glc
	s_waitcnt vmcnt(0)
	global_atomic_cmpswap_x2 v[7:8], v0, v[7:10], s[6:7] offset:24 glc
	s_waitcnt vmcnt(0)
	buffer_wbinvl1_vol
	v_cmp_eq_u64_e32 vcc, v[7:8], v[9:10]
	s_or_b64 s[18:19], vcc, s[18:19]
	s_andn2_b64 exec, exec, s[18:19]
	s_cbranch_execnz .LBB5_1437
; %bb.1438:
	s_or_b64 exec, exec, s[18:19]
.LBB5_1439:
	s_or_b64 exec, exec, s[16:17]
.LBB5_1440:
	s_or_b64 exec, exec, s[10:11]
	v_mov_b32_e32 v6, 0
	global_load_dwordx2 v[9:10], v6, s[6:7] offset:40
	global_load_dwordx4 v[0:3], v6, s[6:7]
	v_readfirstlane_b32 s10, v7
	v_readfirstlane_b32 s11, v8
	s_mov_b64 s[16:17], exec
	s_waitcnt vmcnt(1)
	v_readfirstlane_b32 s18, v9
	v_readfirstlane_b32 s19, v10
	s_and_b64 s[18:19], s[10:11], s[18:19]
	s_mul_i32 s15, s19, 24
	s_mul_hi_u32 s20, s18, 24
	s_mul_i32 s21, s18, 24
	s_add_i32 s15, s20, s15
	v_mov_b32_e32 v7, s15
	s_waitcnt vmcnt(0)
	v_add_co_u32_e32 v8, vcc, s21, v0
	v_addc_co_u32_e32 v9, vcc, v1, v7, vcc
	s_and_saveexec_b64 s[20:21], s[4:5]
	s_cbranch_execz .LBB5_1442
; %bb.1441:
	v_mov_b32_e32 v10, s16
	v_mov_b32_e32 v11, s17
	;; [unrolled: 1-line block ×4, first 2 shown]
	global_store_dwordx4 v[8:9], v[10:13], off offset:8
.LBB5_1442:
	s_or_b64 exec, exec, s[20:21]
	s_lshl_b64 s[16:17], s[18:19], 12
	v_mov_b32_e32 v7, s17
	v_add_co_u32_e32 v2, vcc, s16, v2
	v_addc_co_u32_e32 v3, vcc, v3, v7, vcc
	s_movk_i32 s15, 0xff1f
	v_and_or_b32 v4, v4, s15, 32
	v_add_co_u32_e32 v10, vcc, v2, v31
	s_mov_b32 s16, 0
	v_mov_b32_e32 v7, v6
	v_readfirstlane_b32 s20, v2
	v_readfirstlane_b32 s21, v3
	v_addc_co_u32_e32 v11, vcc, 0, v3, vcc
	s_mov_b32 s17, s16
	s_mov_b32 s18, s16
	;; [unrolled: 1-line block ×3, first 2 shown]
	s_nop 0
	global_store_dwordx4 v31, v[4:7], s[20:21]
	v_mov_b32_e32 v2, s16
	v_mov_b32_e32 v3, s17
	;; [unrolled: 1-line block ×4, first 2 shown]
	global_store_dwordx4 v31, v[2:5], s[20:21] offset:16
	global_store_dwordx4 v31, v[2:5], s[20:21] offset:32
	;; [unrolled: 1-line block ×3, first 2 shown]
	s_and_saveexec_b64 s[16:17], s[4:5]
	s_cbranch_execz .LBB5_1450
; %bb.1443:
	v_mov_b32_e32 v6, 0
	global_load_dwordx2 v[14:15], v6, s[6:7] offset:32 glc
	global_load_dwordx2 v[2:3], v6, s[6:7] offset:40
	v_mov_b32_e32 v12, s10
	v_mov_b32_e32 v13, s11
	s_waitcnt vmcnt(0)
	v_readfirstlane_b32 s18, v2
	v_readfirstlane_b32 s19, v3
	s_and_b64 s[18:19], s[18:19], s[10:11]
	s_mul_i32 s15, s19, 24
	s_mul_hi_u32 s19, s18, 24
	s_mul_i32 s18, s18, 24
	s_add_i32 s15, s19, s15
	v_mov_b32_e32 v2, s15
	v_add_co_u32_e32 v4, vcc, s18, v0
	v_addc_co_u32_e32 v5, vcc, v1, v2, vcc
	global_store_dwordx2 v[4:5], v[14:15], off
	s_waitcnt vmcnt(0)
	global_atomic_cmpswap_x2 v[2:3], v6, v[12:15], s[6:7] offset:32 glc
	s_waitcnt vmcnt(0)
	v_cmp_ne_u64_e32 vcc, v[2:3], v[14:15]
	s_and_saveexec_b64 s[18:19], vcc
	s_cbranch_execz .LBB5_1446
; %bb.1444:
	s_mov_b64 s[20:21], 0
.LBB5_1445:                             ; =>This Inner Loop Header: Depth=1
	s_sleep 1
	global_store_dwordx2 v[4:5], v[2:3], off
	v_mov_b32_e32 v0, s10
	v_mov_b32_e32 v1, s11
	s_waitcnt vmcnt(0)
	global_atomic_cmpswap_x2 v[0:1], v6, v[0:3], s[6:7] offset:32 glc
	s_waitcnt vmcnt(0)
	v_cmp_eq_u64_e32 vcc, v[0:1], v[2:3]
	v_mov_b32_e32 v3, v1
	s_or_b64 s[20:21], vcc, s[20:21]
	v_mov_b32_e32 v2, v0
	s_andn2_b64 exec, exec, s[20:21]
	s_cbranch_execnz .LBB5_1445
.LBB5_1446:
	s_or_b64 exec, exec, s[18:19]
	v_mov_b32_e32 v3, 0
	global_load_dwordx2 v[0:1], v3, s[6:7] offset:16
	s_mov_b64 s[18:19], exec
	v_mbcnt_lo_u32_b32 v2, s18, 0
	v_mbcnt_hi_u32_b32 v2, s19, v2
	v_cmp_eq_u32_e32 vcc, 0, v2
	s_and_saveexec_b64 s[20:21], vcc
	s_cbranch_execz .LBB5_1448
; %bb.1447:
	s_bcnt1_i32_b64 s15, s[18:19]
	v_mov_b32_e32 v2, s15
	s_waitcnt vmcnt(0)
	global_atomic_add_x2 v[0:1], v[2:3], off offset:8
.LBB5_1448:
	s_or_b64 exec, exec, s[20:21]
	s_waitcnt vmcnt(0)
	global_load_dwordx2 v[2:3], v[0:1], off offset:16
	s_waitcnt vmcnt(0)
	v_cmp_eq_u64_e32 vcc, 0, v[2:3]
	s_cbranch_vccnz .LBB5_1450
; %bb.1449:
	global_load_dword v0, v[0:1], off offset:24
	v_mov_b32_e32 v1, 0
	s_waitcnt vmcnt(0)
	global_store_dwordx2 v[2:3], v[0:1], off
	v_and_b32_e32 v0, 0xffffff, v0
	v_readfirstlane_b32 m0, v0
	s_sendmsg sendmsg(MSG_INTERRUPT)
.LBB5_1450:
	s_or_b64 exec, exec, s[16:17]
	s_branch .LBB5_1454
.LBB5_1451:                             ;   in Loop: Header=BB5_1454 Depth=1
	s_or_b64 exec, exec, s[16:17]
	v_readfirstlane_b32 s15, v0
	s_cmp_eq_u32 s15, 0
	s_cbranch_scc1 .LBB5_1453
; %bb.1452:                             ;   in Loop: Header=BB5_1454 Depth=1
	s_sleep 1
	s_cbranch_execnz .LBB5_1454
	s_branch .LBB5_1456
.LBB5_1453:
	s_branch .LBB5_1456
.LBB5_1454:                             ; =>This Inner Loop Header: Depth=1
	v_mov_b32_e32 v0, 1
	s_and_saveexec_b64 s[16:17], s[4:5]
	s_cbranch_execz .LBB5_1451
; %bb.1455:                             ;   in Loop: Header=BB5_1454 Depth=1
	global_load_dword v0, v[8:9], off offset:20 glc
	s_waitcnt vmcnt(0)
	buffer_wbinvl1_vol
	v_and_b32_e32 v0, 1, v0
	s_branch .LBB5_1451
.LBB5_1456:
	global_load_dwordx2 v[0:1], v[10:11], off
	s_and_saveexec_b64 s[16:17], s[4:5]
	s_cbranch_execz .LBB5_1459
; %bb.1457:
	v_mov_b32_e32 v8, 0
	global_load_dwordx2 v[4:5], v8, s[6:7] offset:40
	global_load_dwordx2 v[9:10], v8, s[6:7] offset:24 glc
	global_load_dwordx2 v[6:7], v8, s[6:7]
	v_mov_b32_e32 v3, s11
	s_mov_b64 s[4:5], 0
	s_waitcnt vmcnt(2)
	v_add_co_u32_e32 v11, vcc, 1, v4
	v_addc_co_u32_e32 v12, vcc, 0, v5, vcc
	v_add_co_u32_e32 v2, vcc, s10, v11
	v_addc_co_u32_e32 v3, vcc, v12, v3, vcc
	v_cmp_eq_u64_e32 vcc, 0, v[2:3]
	v_cndmask_b32_e32 v3, v3, v12, vcc
	v_cndmask_b32_e32 v2, v2, v11, vcc
	v_and_b32_e32 v5, v3, v5
	v_and_b32_e32 v4, v2, v4
	v_mul_lo_u32 v5, v5, 24
	v_mul_hi_u32 v11, v4, 24
	v_mul_lo_u32 v12, v4, 24
	s_waitcnt vmcnt(1)
	v_mov_b32_e32 v4, v9
	v_add_u32_e32 v5, v11, v5
	s_waitcnt vmcnt(0)
	v_add_co_u32_e32 v6, vcc, v6, v12
	v_addc_co_u32_e32 v7, vcc, v7, v5, vcc
	global_store_dwordx2 v[6:7], v[9:10], off
	v_mov_b32_e32 v5, v10
	s_waitcnt vmcnt(0)
	global_atomic_cmpswap_x2 v[4:5], v8, v[2:5], s[6:7] offset:24 glc
	s_waitcnt vmcnt(0)
	v_cmp_ne_u64_e32 vcc, v[4:5], v[9:10]
	s_and_b64 exec, exec, vcc
	s_cbranch_execz .LBB5_1459
.LBB5_1458:                             ; =>This Inner Loop Header: Depth=1
	s_sleep 1
	global_store_dwordx2 v[6:7], v[4:5], off
	s_waitcnt vmcnt(0)
	global_atomic_cmpswap_x2 v[9:10], v8, v[2:5], s[6:7] offset:24 glc
	s_waitcnt vmcnt(0)
	v_cmp_eq_u64_e32 vcc, v[9:10], v[4:5]
	v_mov_b32_e32 v4, v9
	s_or_b64 s[4:5], vcc, s[4:5]
	v_mov_b32_e32 v5, v10
	s_andn2_b64 exec, exec, s[4:5]
	s_cbranch_execnz .LBB5_1458
.LBB5_1459:
	s_or_b64 exec, exec, s[16:17]
.LBB5_1460:
	s_getpc_b64 s[10:11]
	s_add_u32 s10, s10, .str.2@rel32@lo+4
	s_addc_u32 s11, s11, .str.2@rel32@hi+12
	s_cmp_lg_u64 s[10:11], 0
	s_cbranch_scc0 .LBB5_1545
; %bb.1461:
	s_waitcnt vmcnt(0)
	v_and_b32_e32 v6, -3, v0
	v_mov_b32_e32 v7, v1
	s_mov_b64 s[16:17], 13
	v_mov_b32_e32 v26, 0
	v_mov_b32_e32 v4, 2
	;; [unrolled: 1-line block ×3, first 2 shown]
	s_branch .LBB5_1463
.LBB5_1462:                             ;   in Loop: Header=BB5_1463 Depth=1
	s_or_b64 exec, exec, s[22:23]
	s_sub_u32 s16, s16, s18
	s_subb_u32 s17, s17, s19
	s_add_u32 s10, s10, s18
	s_addc_u32 s11, s11, s19
	s_cmp_lg_u64 s[16:17], 0
	s_cbranch_scc0 .LBB5_1544
.LBB5_1463:                             ; =>This Loop Header: Depth=1
                                        ;     Child Loop BB5_1466 Depth 2
                                        ;     Child Loop BB5_1473 Depth 2
                                        ;     Child Loop BB5_1481 Depth 2
                                        ;     Child Loop BB5_1489 Depth 2
                                        ;     Child Loop BB5_1497 Depth 2
                                        ;     Child Loop BB5_1505 Depth 2
                                        ;     Child Loop BB5_1513 Depth 2
                                        ;     Child Loop BB5_1521 Depth 2
                                        ;     Child Loop BB5_1529 Depth 2
                                        ;     Child Loop BB5_1538 Depth 2
                                        ;     Child Loop BB5_1543 Depth 2
	v_cmp_lt_u64_e64 s[4:5], s[16:17], 56
	v_cmp_gt_u64_e64 s[20:21], s[16:17], 7
	s_and_b64 s[4:5], s[4:5], exec
	s_cselect_b32 s19, s17, 0
	s_cselect_b32 s18, s16, 56
	s_and_b64 vcc, exec, s[20:21]
	s_cbranch_vccnz .LBB5_1468
; %bb.1464:                             ;   in Loop: Header=BB5_1463 Depth=1
	s_waitcnt vmcnt(0)
	v_mov_b32_e32 v8, 0
	s_cmp_eq_u64 s[16:17], 0
	v_mov_b32_e32 v9, 0
	s_mov_b64 s[4:5], 0
	s_cbranch_scc1 .LBB5_1467
; %bb.1465:                             ;   in Loop: Header=BB5_1463 Depth=1
	v_mov_b32_e32 v8, 0
	s_lshl_b64 s[20:21], s[18:19], 3
	s_mov_b64 s[22:23], 0
	v_mov_b32_e32 v9, 0
	s_mov_b64 s[24:25], s[10:11]
.LBB5_1466:                             ;   Parent Loop BB5_1463 Depth=1
                                        ; =>  This Inner Loop Header: Depth=2
	global_load_ubyte v2, v26, s[24:25]
	s_waitcnt vmcnt(0)
	v_and_b32_e32 v25, 0xffff, v2
	v_lshlrev_b64 v[2:3], s22, v[25:26]
	s_add_u32 s22, s22, 8
	s_addc_u32 s23, s23, 0
	s_add_u32 s24, s24, 1
	s_addc_u32 s25, s25, 0
	v_or_b32_e32 v8, v2, v8
	s_cmp_lg_u32 s20, s22
	v_or_b32_e32 v9, v3, v9
	s_cbranch_scc1 .LBB5_1466
.LBB5_1467:                             ;   in Loop: Header=BB5_1463 Depth=1
	s_mov_b32 s15, 0
	s_andn2_b64 vcc, exec, s[4:5]
	s_mov_b64 s[4:5], s[10:11]
	s_cbranch_vccz .LBB5_1469
	s_branch .LBB5_1470
.LBB5_1468:                             ;   in Loop: Header=BB5_1463 Depth=1
                                        ; implicit-def: $sgpr15
	s_mov_b64 s[4:5], s[10:11]
.LBB5_1469:                             ;   in Loop: Header=BB5_1463 Depth=1
	global_load_dwordx2 v[8:9], v26, s[10:11]
	s_add_i32 s15, s18, -8
	s_add_u32 s4, s10, 8
	s_addc_u32 s5, s11, 0
.LBB5_1470:                             ;   in Loop: Header=BB5_1463 Depth=1
	s_cmp_gt_u32 s15, 7
	s_cbranch_scc1 .LBB5_1474
; %bb.1471:                             ;   in Loop: Header=BB5_1463 Depth=1
	s_cmp_eq_u32 s15, 0
	s_cbranch_scc1 .LBB5_1475
; %bb.1472:                             ;   in Loop: Header=BB5_1463 Depth=1
	v_mov_b32_e32 v10, 0
	s_mov_b64 s[20:21], 0
	v_mov_b32_e32 v11, 0
	s_mov_b64 s[22:23], 0
.LBB5_1473:                             ;   Parent Loop BB5_1463 Depth=1
                                        ; =>  This Inner Loop Header: Depth=2
	s_add_u32 s24, s4, s22
	s_addc_u32 s25, s5, s23
	global_load_ubyte v2, v26, s[24:25]
	s_add_u32 s22, s22, 1
	s_addc_u32 s23, s23, 0
	s_waitcnt vmcnt(0)
	v_and_b32_e32 v25, 0xffff, v2
	v_lshlrev_b64 v[2:3], s20, v[25:26]
	s_add_u32 s20, s20, 8
	s_addc_u32 s21, s21, 0
	v_or_b32_e32 v10, v2, v10
	s_cmp_lg_u32 s15, s22
	v_or_b32_e32 v11, v3, v11
	s_cbranch_scc1 .LBB5_1473
	s_branch .LBB5_1476
.LBB5_1474:                             ;   in Loop: Header=BB5_1463 Depth=1
                                        ; implicit-def: $vgpr10_vgpr11
                                        ; implicit-def: $sgpr24
	s_branch .LBB5_1477
.LBB5_1475:                             ;   in Loop: Header=BB5_1463 Depth=1
	v_mov_b32_e32 v10, 0
	v_mov_b32_e32 v11, 0
.LBB5_1476:                             ;   in Loop: Header=BB5_1463 Depth=1
	s_mov_b32 s24, 0
	s_cbranch_execnz .LBB5_1478
.LBB5_1477:                             ;   in Loop: Header=BB5_1463 Depth=1
	global_load_dwordx2 v[10:11], v26, s[4:5]
	s_add_i32 s24, s15, -8
	s_add_u32 s4, s4, 8
	s_addc_u32 s5, s5, 0
.LBB5_1478:                             ;   in Loop: Header=BB5_1463 Depth=1
	s_cmp_gt_u32 s24, 7
	s_cbranch_scc1 .LBB5_1482
; %bb.1479:                             ;   in Loop: Header=BB5_1463 Depth=1
	s_cmp_eq_u32 s24, 0
	s_cbranch_scc1 .LBB5_1483
; %bb.1480:                             ;   in Loop: Header=BB5_1463 Depth=1
	v_mov_b32_e32 v12, 0
	s_mov_b64 s[20:21], 0
	v_mov_b32_e32 v13, 0
	s_mov_b64 s[22:23], 0
.LBB5_1481:                             ;   Parent Loop BB5_1463 Depth=1
                                        ; =>  This Inner Loop Header: Depth=2
	s_add_u32 s26, s4, s22
	s_addc_u32 s27, s5, s23
	global_load_ubyte v2, v26, s[26:27]
	s_add_u32 s22, s22, 1
	s_addc_u32 s23, s23, 0
	s_waitcnt vmcnt(0)
	v_and_b32_e32 v25, 0xffff, v2
	v_lshlrev_b64 v[2:3], s20, v[25:26]
	s_add_u32 s20, s20, 8
	s_addc_u32 s21, s21, 0
	v_or_b32_e32 v12, v2, v12
	s_cmp_lg_u32 s24, s22
	v_or_b32_e32 v13, v3, v13
	s_cbranch_scc1 .LBB5_1481
	s_branch .LBB5_1484
.LBB5_1482:                             ;   in Loop: Header=BB5_1463 Depth=1
                                        ; implicit-def: $sgpr15
	s_branch .LBB5_1485
.LBB5_1483:                             ;   in Loop: Header=BB5_1463 Depth=1
	v_mov_b32_e32 v12, 0
	v_mov_b32_e32 v13, 0
.LBB5_1484:                             ;   in Loop: Header=BB5_1463 Depth=1
	s_mov_b32 s15, 0
	s_cbranch_execnz .LBB5_1486
.LBB5_1485:                             ;   in Loop: Header=BB5_1463 Depth=1
	global_load_dwordx2 v[12:13], v26, s[4:5]
	s_add_i32 s15, s24, -8
	s_add_u32 s4, s4, 8
	s_addc_u32 s5, s5, 0
.LBB5_1486:                             ;   in Loop: Header=BB5_1463 Depth=1
	s_cmp_gt_u32 s15, 7
	s_cbranch_scc1 .LBB5_1490
; %bb.1487:                             ;   in Loop: Header=BB5_1463 Depth=1
	s_cmp_eq_u32 s15, 0
	s_cbranch_scc1 .LBB5_1491
; %bb.1488:                             ;   in Loop: Header=BB5_1463 Depth=1
	v_mov_b32_e32 v14, 0
	s_mov_b64 s[20:21], 0
	v_mov_b32_e32 v15, 0
	s_mov_b64 s[22:23], 0
.LBB5_1489:                             ;   Parent Loop BB5_1463 Depth=1
                                        ; =>  This Inner Loop Header: Depth=2
	s_add_u32 s24, s4, s22
	s_addc_u32 s25, s5, s23
	global_load_ubyte v2, v26, s[24:25]
	s_add_u32 s22, s22, 1
	s_addc_u32 s23, s23, 0
	s_waitcnt vmcnt(0)
	v_and_b32_e32 v25, 0xffff, v2
	v_lshlrev_b64 v[2:3], s20, v[25:26]
	s_add_u32 s20, s20, 8
	s_addc_u32 s21, s21, 0
	v_or_b32_e32 v14, v2, v14
	s_cmp_lg_u32 s15, s22
	v_or_b32_e32 v15, v3, v15
	s_cbranch_scc1 .LBB5_1489
	s_branch .LBB5_1492
.LBB5_1490:                             ;   in Loop: Header=BB5_1463 Depth=1
                                        ; implicit-def: $vgpr14_vgpr15
                                        ; implicit-def: $sgpr24
	s_branch .LBB5_1493
.LBB5_1491:                             ;   in Loop: Header=BB5_1463 Depth=1
	v_mov_b32_e32 v14, 0
	v_mov_b32_e32 v15, 0
.LBB5_1492:                             ;   in Loop: Header=BB5_1463 Depth=1
	s_mov_b32 s24, 0
	s_cbranch_execnz .LBB5_1494
.LBB5_1493:                             ;   in Loop: Header=BB5_1463 Depth=1
	global_load_dwordx2 v[14:15], v26, s[4:5]
	s_add_i32 s24, s15, -8
	s_add_u32 s4, s4, 8
	s_addc_u32 s5, s5, 0
.LBB5_1494:                             ;   in Loop: Header=BB5_1463 Depth=1
	s_cmp_gt_u32 s24, 7
	s_cbranch_scc1 .LBB5_1498
; %bb.1495:                             ;   in Loop: Header=BB5_1463 Depth=1
	s_cmp_eq_u32 s24, 0
	s_cbranch_scc1 .LBB5_1499
; %bb.1496:                             ;   in Loop: Header=BB5_1463 Depth=1
	v_mov_b32_e32 v16, 0
	s_mov_b64 s[20:21], 0
	v_mov_b32_e32 v17, 0
	s_mov_b64 s[22:23], 0
.LBB5_1497:                             ;   Parent Loop BB5_1463 Depth=1
                                        ; =>  This Inner Loop Header: Depth=2
	s_add_u32 s26, s4, s22
	s_addc_u32 s27, s5, s23
	global_load_ubyte v2, v26, s[26:27]
	s_add_u32 s22, s22, 1
	s_addc_u32 s23, s23, 0
	s_waitcnt vmcnt(0)
	v_and_b32_e32 v25, 0xffff, v2
	v_lshlrev_b64 v[2:3], s20, v[25:26]
	s_add_u32 s20, s20, 8
	s_addc_u32 s21, s21, 0
	v_or_b32_e32 v16, v2, v16
	s_cmp_lg_u32 s24, s22
	v_or_b32_e32 v17, v3, v17
	s_cbranch_scc1 .LBB5_1497
	s_branch .LBB5_1500
.LBB5_1498:                             ;   in Loop: Header=BB5_1463 Depth=1
                                        ; implicit-def: $sgpr15
	s_branch .LBB5_1501
.LBB5_1499:                             ;   in Loop: Header=BB5_1463 Depth=1
	v_mov_b32_e32 v16, 0
	v_mov_b32_e32 v17, 0
.LBB5_1500:                             ;   in Loop: Header=BB5_1463 Depth=1
	s_mov_b32 s15, 0
	s_cbranch_execnz .LBB5_1502
.LBB5_1501:                             ;   in Loop: Header=BB5_1463 Depth=1
	global_load_dwordx2 v[16:17], v26, s[4:5]
	s_add_i32 s15, s24, -8
	s_add_u32 s4, s4, 8
	s_addc_u32 s5, s5, 0
.LBB5_1502:                             ;   in Loop: Header=BB5_1463 Depth=1
	s_cmp_gt_u32 s15, 7
	s_cbranch_scc1 .LBB5_1506
; %bb.1503:                             ;   in Loop: Header=BB5_1463 Depth=1
	s_cmp_eq_u32 s15, 0
	s_cbranch_scc1 .LBB5_1507
; %bb.1504:                             ;   in Loop: Header=BB5_1463 Depth=1
	v_mov_b32_e32 v18, 0
	s_mov_b64 s[20:21], 0
	v_mov_b32_e32 v19, 0
	s_mov_b64 s[22:23], 0
.LBB5_1505:                             ;   Parent Loop BB5_1463 Depth=1
                                        ; =>  This Inner Loop Header: Depth=2
	s_add_u32 s24, s4, s22
	s_addc_u32 s25, s5, s23
	global_load_ubyte v2, v26, s[24:25]
	s_add_u32 s22, s22, 1
	s_addc_u32 s23, s23, 0
	s_waitcnt vmcnt(0)
	v_and_b32_e32 v25, 0xffff, v2
	v_lshlrev_b64 v[2:3], s20, v[25:26]
	s_add_u32 s20, s20, 8
	s_addc_u32 s21, s21, 0
	v_or_b32_e32 v18, v2, v18
	s_cmp_lg_u32 s15, s22
	v_or_b32_e32 v19, v3, v19
	s_cbranch_scc1 .LBB5_1505
	s_branch .LBB5_1508
.LBB5_1506:                             ;   in Loop: Header=BB5_1463 Depth=1
                                        ; implicit-def: $vgpr18_vgpr19
                                        ; implicit-def: $sgpr24
	s_branch .LBB5_1509
.LBB5_1507:                             ;   in Loop: Header=BB5_1463 Depth=1
	v_mov_b32_e32 v18, 0
	v_mov_b32_e32 v19, 0
.LBB5_1508:                             ;   in Loop: Header=BB5_1463 Depth=1
	s_mov_b32 s24, 0
	s_cbranch_execnz .LBB5_1510
.LBB5_1509:                             ;   in Loop: Header=BB5_1463 Depth=1
	global_load_dwordx2 v[18:19], v26, s[4:5]
	s_add_i32 s24, s15, -8
	s_add_u32 s4, s4, 8
	s_addc_u32 s5, s5, 0
.LBB5_1510:                             ;   in Loop: Header=BB5_1463 Depth=1
	s_cmp_gt_u32 s24, 7
	s_cbranch_scc1 .LBB5_1514
; %bb.1511:                             ;   in Loop: Header=BB5_1463 Depth=1
	s_cmp_eq_u32 s24, 0
	s_cbranch_scc1 .LBB5_1515
; %bb.1512:                             ;   in Loop: Header=BB5_1463 Depth=1
	v_mov_b32_e32 v20, 0
	s_mov_b64 s[20:21], 0
	v_mov_b32_e32 v21, 0
	s_mov_b64 s[22:23], s[4:5]
.LBB5_1513:                             ;   Parent Loop BB5_1463 Depth=1
                                        ; =>  This Inner Loop Header: Depth=2
	global_load_ubyte v2, v26, s[22:23]
	s_add_i32 s24, s24, -1
	s_waitcnt vmcnt(0)
	v_and_b32_e32 v25, 0xffff, v2
	v_lshlrev_b64 v[2:3], s20, v[25:26]
	s_add_u32 s20, s20, 8
	s_addc_u32 s21, s21, 0
	s_add_u32 s22, s22, 1
	s_addc_u32 s23, s23, 0
	v_or_b32_e32 v20, v2, v20
	s_cmp_lg_u32 s24, 0
	v_or_b32_e32 v21, v3, v21
	s_cbranch_scc1 .LBB5_1513
	s_branch .LBB5_1516
.LBB5_1514:                             ;   in Loop: Header=BB5_1463 Depth=1
	s_branch .LBB5_1517
.LBB5_1515:                             ;   in Loop: Header=BB5_1463 Depth=1
	v_mov_b32_e32 v20, 0
	v_mov_b32_e32 v21, 0
.LBB5_1516:                             ;   in Loop: Header=BB5_1463 Depth=1
	s_cbranch_execnz .LBB5_1518
.LBB5_1517:                             ;   in Loop: Header=BB5_1463 Depth=1
	global_load_dwordx2 v[20:21], v26, s[4:5]
.LBB5_1518:                             ;   in Loop: Header=BB5_1463 Depth=1
	v_readfirstlane_b32 s4, v32
	v_mov_b32_e32 v2, 0
	v_mov_b32_e32 v3, 0
	v_cmp_eq_u32_e64 s[4:5], s4, v32
	s_and_saveexec_b64 s[20:21], s[4:5]
	s_cbranch_execz .LBB5_1524
; %bb.1519:                             ;   in Loop: Header=BB5_1463 Depth=1
	global_load_dwordx2 v[24:25], v26, s[6:7] offset:24 glc
	s_waitcnt vmcnt(0)
	buffer_wbinvl1_vol
	global_load_dwordx2 v[2:3], v26, s[6:7] offset:40
	global_load_dwordx2 v[22:23], v26, s[6:7]
	s_waitcnt vmcnt(1)
	v_and_b32_e32 v2, v2, v24
	v_and_b32_e32 v3, v3, v25
	v_mul_lo_u32 v3, v3, 24
	v_mul_hi_u32 v27, v2, 24
	v_mul_lo_u32 v2, v2, 24
	v_add_u32_e32 v3, v27, v3
	s_waitcnt vmcnt(0)
	v_add_co_u32_e32 v2, vcc, v22, v2
	v_addc_co_u32_e32 v3, vcc, v23, v3, vcc
	global_load_dwordx2 v[22:23], v[2:3], off glc
	s_waitcnt vmcnt(0)
	global_atomic_cmpswap_x2 v[2:3], v26, v[22:25], s[6:7] offset:24 glc
	s_waitcnt vmcnt(0)
	buffer_wbinvl1_vol
	v_cmp_ne_u64_e32 vcc, v[2:3], v[24:25]
	s_and_saveexec_b64 s[22:23], vcc
	s_cbranch_execz .LBB5_1523
; %bb.1520:                             ;   in Loop: Header=BB5_1463 Depth=1
	s_mov_b64 s[24:25], 0
.LBB5_1521:                             ;   Parent Loop BB5_1463 Depth=1
                                        ; =>  This Inner Loop Header: Depth=2
	s_sleep 1
	global_load_dwordx2 v[22:23], v26, s[6:7] offset:40
	global_load_dwordx2 v[27:28], v26, s[6:7]
	v_mov_b32_e32 v25, v3
	v_mov_b32_e32 v24, v2
	s_waitcnt vmcnt(1)
	v_and_b32_e32 v2, v22, v24
	s_waitcnt vmcnt(0)
	v_mad_u64_u32 v[2:3], s[26:27], v2, 24, v[27:28]
	v_and_b32_e32 v22, v23, v25
	v_mad_u64_u32 v[22:23], s[26:27], v22, 24, v[3:4]
	v_mov_b32_e32 v3, v22
	global_load_dwordx2 v[22:23], v[2:3], off glc
	s_waitcnt vmcnt(0)
	global_atomic_cmpswap_x2 v[2:3], v26, v[22:25], s[6:7] offset:24 glc
	s_waitcnt vmcnt(0)
	buffer_wbinvl1_vol
	v_cmp_eq_u64_e32 vcc, v[2:3], v[24:25]
	s_or_b64 s[24:25], vcc, s[24:25]
	s_andn2_b64 exec, exec, s[24:25]
	s_cbranch_execnz .LBB5_1521
; %bb.1522:                             ;   in Loop: Header=BB5_1463 Depth=1
	s_or_b64 exec, exec, s[24:25]
.LBB5_1523:                             ;   in Loop: Header=BB5_1463 Depth=1
	s_or_b64 exec, exec, s[22:23]
.LBB5_1524:                             ;   in Loop: Header=BB5_1463 Depth=1
	s_or_b64 exec, exec, s[20:21]
	global_load_dwordx2 v[27:28], v26, s[6:7] offset:40
	global_load_dwordx4 v[22:25], v26, s[6:7]
	v_readfirstlane_b32 s20, v2
	v_readfirstlane_b32 s21, v3
	s_mov_b64 s[22:23], exec
	s_waitcnt vmcnt(1)
	v_readfirstlane_b32 s24, v27
	v_readfirstlane_b32 s25, v28
	s_and_b64 s[24:25], s[20:21], s[24:25]
	s_mul_i32 s15, s25, 24
	s_mul_hi_u32 s26, s24, 24
	s_mul_i32 s27, s24, 24
	s_add_i32 s15, s26, s15
	v_mov_b32_e32 v2, s15
	s_waitcnt vmcnt(0)
	v_add_co_u32_e32 v27, vcc, s27, v22
	v_addc_co_u32_e32 v28, vcc, v23, v2, vcc
	s_and_saveexec_b64 s[26:27], s[4:5]
	s_cbranch_execz .LBB5_1526
; %bb.1525:                             ;   in Loop: Header=BB5_1463 Depth=1
	v_mov_b32_e32 v2, s22
	v_mov_b32_e32 v3, s23
	global_store_dwordx4 v[27:28], v[2:5], off offset:8
.LBB5_1526:                             ;   in Loop: Header=BB5_1463 Depth=1
	s_or_b64 exec, exec, s[26:27]
	s_lshl_b64 s[22:23], s[24:25], 12
	v_mov_b32_e32 v2, s23
	v_add_co_u32_e32 v24, vcc, s22, v24
	v_addc_co_u32_e32 v29, vcc, v25, v2, vcc
	v_cmp_gt_u64_e64 vcc, s[16:17], 56
	v_or_b32_e32 v2, 2, v6
	s_lshl_b32 s15, s18, 2
	v_cndmask_b32_e32 v2, v2, v6, vcc
	s_add_i32 s15, s15, 28
	s_and_b32 s15, s15, 0x1e0
	v_and_b32_e32 v2, 0xffffff1f, v2
	v_or_b32_e32 v6, s15, v2
	v_readfirstlane_b32 s22, v24
	v_readfirstlane_b32 s23, v29
	s_nop 4
	global_store_dwordx4 v31, v[6:9], s[22:23]
	global_store_dwordx4 v31, v[10:13], s[22:23] offset:16
	global_store_dwordx4 v31, v[14:17], s[22:23] offset:32
	;; [unrolled: 1-line block ×3, first 2 shown]
	s_and_saveexec_b64 s[22:23], s[4:5]
	s_cbranch_execz .LBB5_1534
; %bb.1527:                             ;   in Loop: Header=BB5_1463 Depth=1
	global_load_dwordx2 v[10:11], v26, s[6:7] offset:32 glc
	global_load_dwordx2 v[2:3], v26, s[6:7] offset:40
	v_mov_b32_e32 v8, s20
	v_mov_b32_e32 v9, s21
	s_waitcnt vmcnt(0)
	v_readfirstlane_b32 s24, v2
	v_readfirstlane_b32 s25, v3
	s_and_b64 s[24:25], s[24:25], s[20:21]
	s_mul_i32 s15, s25, 24
	s_mul_hi_u32 s25, s24, 24
	s_mul_i32 s24, s24, 24
	s_add_i32 s15, s25, s15
	v_mov_b32_e32 v3, s15
	v_add_co_u32_e32 v2, vcc, s24, v22
	v_addc_co_u32_e32 v3, vcc, v23, v3, vcc
	global_store_dwordx2 v[2:3], v[10:11], off
	s_waitcnt vmcnt(0)
	global_atomic_cmpswap_x2 v[8:9], v26, v[8:11], s[6:7] offset:32 glc
	s_waitcnt vmcnt(0)
	v_cmp_ne_u64_e32 vcc, v[8:9], v[10:11]
	s_and_saveexec_b64 s[24:25], vcc
	s_cbranch_execz .LBB5_1530
; %bb.1528:                             ;   in Loop: Header=BB5_1463 Depth=1
	s_mov_b64 s[26:27], 0
.LBB5_1529:                             ;   Parent Loop BB5_1463 Depth=1
                                        ; =>  This Inner Loop Header: Depth=2
	s_sleep 1
	global_store_dwordx2 v[2:3], v[8:9], off
	v_mov_b32_e32 v6, s20
	v_mov_b32_e32 v7, s21
	s_waitcnt vmcnt(0)
	global_atomic_cmpswap_x2 v[6:7], v26, v[6:9], s[6:7] offset:32 glc
	s_waitcnt vmcnt(0)
	v_cmp_eq_u64_e32 vcc, v[6:7], v[8:9]
	v_mov_b32_e32 v9, v7
	s_or_b64 s[26:27], vcc, s[26:27]
	v_mov_b32_e32 v8, v6
	s_andn2_b64 exec, exec, s[26:27]
	s_cbranch_execnz .LBB5_1529
.LBB5_1530:                             ;   in Loop: Header=BB5_1463 Depth=1
	s_or_b64 exec, exec, s[24:25]
	global_load_dwordx2 v[2:3], v26, s[6:7] offset:16
	s_mov_b64 s[26:27], exec
	v_mbcnt_lo_u32_b32 v6, s26, 0
	v_mbcnt_hi_u32_b32 v6, s27, v6
	v_cmp_eq_u32_e32 vcc, 0, v6
	s_and_saveexec_b64 s[24:25], vcc
	s_cbranch_execz .LBB5_1532
; %bb.1531:                             ;   in Loop: Header=BB5_1463 Depth=1
	s_bcnt1_i32_b64 s15, s[26:27]
	v_mov_b32_e32 v25, s15
	s_waitcnt vmcnt(0)
	global_atomic_add_x2 v[2:3], v[25:26], off offset:8
.LBB5_1532:                             ;   in Loop: Header=BB5_1463 Depth=1
	s_or_b64 exec, exec, s[24:25]
	s_waitcnt vmcnt(0)
	global_load_dwordx2 v[6:7], v[2:3], off offset:16
	s_waitcnt vmcnt(0)
	v_cmp_eq_u64_e32 vcc, 0, v[6:7]
	s_cbranch_vccnz .LBB5_1534
; %bb.1533:                             ;   in Loop: Header=BB5_1463 Depth=1
	global_load_dword v25, v[2:3], off offset:24
	s_waitcnt vmcnt(0)
	v_and_b32_e32 v2, 0xffffff, v25
	v_readfirstlane_b32 m0, v2
	global_store_dwordx2 v[6:7], v[25:26], off
	s_sendmsg sendmsg(MSG_INTERRUPT)
.LBB5_1534:                             ;   in Loop: Header=BB5_1463 Depth=1
	s_or_b64 exec, exec, s[22:23]
	v_add_co_u32_e32 v2, vcc, v24, v31
	v_addc_co_u32_e32 v3, vcc, 0, v29, vcc
	s_branch .LBB5_1538
.LBB5_1535:                             ;   in Loop: Header=BB5_1538 Depth=2
	s_or_b64 exec, exec, s[22:23]
	v_readfirstlane_b32 s15, v6
	s_cmp_eq_u32 s15, 0
	s_cbranch_scc1 .LBB5_1537
; %bb.1536:                             ;   in Loop: Header=BB5_1538 Depth=2
	s_sleep 1
	s_cbranch_execnz .LBB5_1538
	s_branch .LBB5_1540
.LBB5_1537:                             ;   in Loop: Header=BB5_1463 Depth=1
	s_branch .LBB5_1540
.LBB5_1538:                             ;   Parent Loop BB5_1463 Depth=1
                                        ; =>  This Inner Loop Header: Depth=2
	v_mov_b32_e32 v6, 1
	s_and_saveexec_b64 s[22:23], s[4:5]
	s_cbranch_execz .LBB5_1535
; %bb.1539:                             ;   in Loop: Header=BB5_1538 Depth=2
	global_load_dword v6, v[27:28], off offset:20 glc
	s_waitcnt vmcnt(0)
	buffer_wbinvl1_vol
	v_and_b32_e32 v6, 1, v6
	s_branch .LBB5_1535
.LBB5_1540:                             ;   in Loop: Header=BB5_1463 Depth=1
	global_load_dwordx4 v[6:9], v[2:3], off
	s_and_saveexec_b64 s[22:23], s[4:5]
	s_cbranch_execz .LBB5_1462
; %bb.1541:                             ;   in Loop: Header=BB5_1463 Depth=1
	global_load_dwordx2 v[2:3], v26, s[6:7] offset:40
	global_load_dwordx2 v[12:13], v26, s[6:7] offset:24 glc
	global_load_dwordx2 v[14:15], v26, s[6:7]
	s_waitcnt vmcnt(3)
	v_mov_b32_e32 v9, s21
	s_waitcnt vmcnt(2)
	v_add_co_u32_e32 v10, vcc, 1, v2
	v_addc_co_u32_e32 v11, vcc, 0, v3, vcc
	v_add_co_u32_e32 v8, vcc, s20, v10
	v_addc_co_u32_e32 v9, vcc, v11, v9, vcc
	v_cmp_eq_u64_e32 vcc, 0, v[8:9]
	v_cndmask_b32_e32 v9, v9, v11, vcc
	v_cndmask_b32_e32 v8, v8, v10, vcc
	v_and_b32_e32 v3, v9, v3
	v_and_b32_e32 v2, v8, v2
	v_mul_lo_u32 v3, v3, 24
	v_mul_hi_u32 v11, v2, 24
	v_mul_lo_u32 v2, v2, 24
	s_waitcnt vmcnt(1)
	v_mov_b32_e32 v10, v12
	v_add_u32_e32 v3, v11, v3
	s_waitcnt vmcnt(0)
	v_add_co_u32_e32 v2, vcc, v14, v2
	v_addc_co_u32_e32 v3, vcc, v15, v3, vcc
	global_store_dwordx2 v[2:3], v[12:13], off
	v_mov_b32_e32 v11, v13
	s_waitcnt vmcnt(0)
	global_atomic_cmpswap_x2 v[10:11], v26, v[8:11], s[6:7] offset:24 glc
	s_waitcnt vmcnt(0)
	v_cmp_ne_u64_e32 vcc, v[10:11], v[12:13]
	s_and_b64 exec, exec, vcc
	s_cbranch_execz .LBB5_1462
; %bb.1542:                             ;   in Loop: Header=BB5_1463 Depth=1
	s_mov_b64 s[4:5], 0
.LBB5_1543:                             ;   Parent Loop BB5_1463 Depth=1
                                        ; =>  This Inner Loop Header: Depth=2
	s_sleep 1
	global_store_dwordx2 v[2:3], v[10:11], off
	s_waitcnt vmcnt(0)
	global_atomic_cmpswap_x2 v[12:13], v26, v[8:11], s[6:7] offset:24 glc
	s_waitcnt vmcnt(0)
	v_cmp_eq_u64_e32 vcc, v[12:13], v[10:11]
	v_mov_b32_e32 v10, v12
	s_or_b64 s[4:5], vcc, s[4:5]
	v_mov_b32_e32 v11, v13
	s_andn2_b64 exec, exec, s[4:5]
	s_cbranch_execnz .LBB5_1543
	s_branch .LBB5_1462
.LBB5_1544:
	s_mov_b64 s[4:5], 0
	s_branch .LBB5_1546
.LBB5_1545:
	s_mov_b64 s[4:5], -1
.LBB5_1546:
	s_mov_b32 s41, s12
	s_mov_b32 s48, s13
	;; [unrolled: 1-line block ×3, first 2 shown]
	s_and_b64 vcc, exec, s[4:5]
	s_cbranch_vccz .LBB5_1573
; %bb.1547:
	v_readfirstlane_b32 s4, v32
	s_waitcnt vmcnt(0)
	v_mov_b32_e32 v8, 0
	v_mov_b32_e32 v9, 0
	v_cmp_eq_u32_e64 s[4:5], s4, v32
	s_and_saveexec_b64 s[10:11], s[4:5]
	s_cbranch_execz .LBB5_1553
; %bb.1548:
	v_mov_b32_e32 v2, 0
	global_load_dwordx2 v[5:6], v2, s[6:7] offset:24 glc
	s_waitcnt vmcnt(0)
	buffer_wbinvl1_vol
	global_load_dwordx2 v[3:4], v2, s[6:7] offset:40
	global_load_dwordx2 v[7:8], v2, s[6:7]
	s_waitcnt vmcnt(1)
	v_and_b32_e32 v3, v3, v5
	v_and_b32_e32 v4, v4, v6
	v_mul_lo_u32 v4, v4, 24
	v_mul_hi_u32 v9, v3, 24
	v_mul_lo_u32 v3, v3, 24
	v_add_u32_e32 v4, v9, v4
	s_waitcnt vmcnt(0)
	v_add_co_u32_e32 v3, vcc, v7, v3
	v_addc_co_u32_e32 v4, vcc, v8, v4, vcc
	global_load_dwordx2 v[3:4], v[3:4], off glc
	s_waitcnt vmcnt(0)
	global_atomic_cmpswap_x2 v[8:9], v2, v[3:6], s[6:7] offset:24 glc
	s_waitcnt vmcnt(0)
	buffer_wbinvl1_vol
	v_cmp_ne_u64_e32 vcc, v[8:9], v[5:6]
	s_and_saveexec_b64 s[12:13], vcc
	s_cbranch_execz .LBB5_1552
; %bb.1549:
	s_mov_b64 s[14:15], 0
.LBB5_1550:                             ; =>This Inner Loop Header: Depth=1
	s_sleep 1
	global_load_dwordx2 v[3:4], v2, s[6:7] offset:40
	global_load_dwordx2 v[10:11], v2, s[6:7]
	v_mov_b32_e32 v5, v8
	v_mov_b32_e32 v6, v9
	s_waitcnt vmcnt(1)
	v_and_b32_e32 v3, v3, v5
	s_waitcnt vmcnt(0)
	v_mad_u64_u32 v[7:8], s[16:17], v3, 24, v[10:11]
	v_and_b32_e32 v4, v4, v6
	v_mov_b32_e32 v3, v8
	v_mad_u64_u32 v[3:4], s[16:17], v4, 24, v[3:4]
	v_mov_b32_e32 v8, v3
	global_load_dwordx2 v[3:4], v[7:8], off glc
	s_waitcnt vmcnt(0)
	global_atomic_cmpswap_x2 v[8:9], v2, v[3:6], s[6:7] offset:24 glc
	s_waitcnt vmcnt(0)
	buffer_wbinvl1_vol
	v_cmp_eq_u64_e32 vcc, v[8:9], v[5:6]
	s_or_b64 s[14:15], vcc, s[14:15]
	s_andn2_b64 exec, exec, s[14:15]
	s_cbranch_execnz .LBB5_1550
; %bb.1551:
	s_or_b64 exec, exec, s[14:15]
.LBB5_1552:
	s_or_b64 exec, exec, s[12:13]
.LBB5_1553:
	s_or_b64 exec, exec, s[10:11]
	v_mov_b32_e32 v2, 0
	global_load_dwordx2 v[10:11], v2, s[6:7] offset:40
	global_load_dwordx4 v[4:7], v2, s[6:7]
	v_readfirstlane_b32 s10, v8
	v_readfirstlane_b32 s11, v9
	s_mov_b64 s[12:13], exec
	s_waitcnt vmcnt(1)
	v_readfirstlane_b32 s14, v10
	v_readfirstlane_b32 s15, v11
	s_and_b64 s[14:15], s[10:11], s[14:15]
	s_mul_i32 s16, s15, 24
	s_mul_hi_u32 s17, s14, 24
	s_mul_i32 s18, s14, 24
	s_add_i32 s16, s17, s16
	v_mov_b32_e32 v3, s16
	s_waitcnt vmcnt(0)
	v_add_co_u32_e32 v8, vcc, s18, v4
	v_addc_co_u32_e32 v9, vcc, v5, v3, vcc
	s_and_saveexec_b64 s[16:17], s[4:5]
	s_cbranch_execz .LBB5_1555
; %bb.1554:
	v_mov_b32_e32 v10, s12
	v_mov_b32_e32 v11, s13
	v_mov_b32_e32 v12, 2
	v_mov_b32_e32 v13, 1
	global_store_dwordx4 v[8:9], v[10:13], off offset:8
.LBB5_1555:
	s_or_b64 exec, exec, s[16:17]
	s_lshl_b64 s[12:13], s[14:15], 12
	v_mov_b32_e32 v3, s13
	v_add_co_u32_e32 v6, vcc, s12, v6
	v_addc_co_u32_e32 v7, vcc, v7, v3, vcc
	s_movk_i32 s12, 0xff1d
	v_and_or_b32 v0, v0, s12, 34
	s_mov_b32 s12, 0
	v_mov_b32_e32 v3, v2
	v_readfirstlane_b32 s16, v6
	v_readfirstlane_b32 s17, v7
	s_mov_b32 s13, s12
	s_mov_b32 s14, s12
	;; [unrolled: 1-line block ×3, first 2 shown]
	s_nop 1
	global_store_dwordx4 v31, v[0:3], s[16:17]
	s_nop 0
	v_mov_b32_e32 v0, s12
	v_mov_b32_e32 v1, s13
	;; [unrolled: 1-line block ×4, first 2 shown]
	global_store_dwordx4 v31, v[0:3], s[16:17] offset:16
	global_store_dwordx4 v31, v[0:3], s[16:17] offset:32
	;; [unrolled: 1-line block ×3, first 2 shown]
	s_and_saveexec_b64 s[12:13], s[4:5]
	s_cbranch_execz .LBB5_1563
; %bb.1556:
	v_mov_b32_e32 v6, 0
	global_load_dwordx2 v[12:13], v6, s[6:7] offset:32 glc
	global_load_dwordx2 v[0:1], v6, s[6:7] offset:40
	v_mov_b32_e32 v10, s10
	v_mov_b32_e32 v11, s11
	s_waitcnt vmcnt(0)
	v_readfirstlane_b32 s14, v0
	v_readfirstlane_b32 s15, v1
	s_and_b64 s[14:15], s[14:15], s[10:11]
	s_mul_i32 s15, s15, 24
	s_mul_hi_u32 s16, s14, 24
	s_mul_i32 s14, s14, 24
	s_add_i32 s15, s16, s15
	v_mov_b32_e32 v0, s15
	v_add_co_u32_e32 v4, vcc, s14, v4
	v_addc_co_u32_e32 v5, vcc, v5, v0, vcc
	global_store_dwordx2 v[4:5], v[12:13], off
	s_waitcnt vmcnt(0)
	global_atomic_cmpswap_x2 v[2:3], v6, v[10:13], s[6:7] offset:32 glc
	s_waitcnt vmcnt(0)
	v_cmp_ne_u64_e32 vcc, v[2:3], v[12:13]
	s_and_saveexec_b64 s[14:15], vcc
	s_cbranch_execz .LBB5_1559
; %bb.1557:
	s_mov_b64 s[16:17], 0
.LBB5_1558:                             ; =>This Inner Loop Header: Depth=1
	s_sleep 1
	global_store_dwordx2 v[4:5], v[2:3], off
	v_mov_b32_e32 v0, s10
	v_mov_b32_e32 v1, s11
	s_waitcnt vmcnt(0)
	global_atomic_cmpswap_x2 v[0:1], v6, v[0:3], s[6:7] offset:32 glc
	s_waitcnt vmcnt(0)
	v_cmp_eq_u64_e32 vcc, v[0:1], v[2:3]
	v_mov_b32_e32 v3, v1
	s_or_b64 s[16:17], vcc, s[16:17]
	v_mov_b32_e32 v2, v0
	s_andn2_b64 exec, exec, s[16:17]
	s_cbranch_execnz .LBB5_1558
.LBB5_1559:
	s_or_b64 exec, exec, s[14:15]
	v_mov_b32_e32 v3, 0
	global_load_dwordx2 v[0:1], v3, s[6:7] offset:16
	s_mov_b64 s[14:15], exec
	v_mbcnt_lo_u32_b32 v2, s14, 0
	v_mbcnt_hi_u32_b32 v2, s15, v2
	v_cmp_eq_u32_e32 vcc, 0, v2
	s_and_saveexec_b64 s[16:17], vcc
	s_cbranch_execz .LBB5_1561
; %bb.1560:
	s_bcnt1_i32_b64 s14, s[14:15]
	v_mov_b32_e32 v2, s14
	s_waitcnt vmcnt(0)
	global_atomic_add_x2 v[0:1], v[2:3], off offset:8
.LBB5_1561:
	s_or_b64 exec, exec, s[16:17]
	s_waitcnt vmcnt(0)
	global_load_dwordx2 v[2:3], v[0:1], off offset:16
	s_waitcnt vmcnt(0)
	v_cmp_eq_u64_e32 vcc, 0, v[2:3]
	s_cbranch_vccnz .LBB5_1563
; %bb.1562:
	global_load_dword v0, v[0:1], off offset:24
	v_mov_b32_e32 v1, 0
	s_waitcnt vmcnt(0)
	global_store_dwordx2 v[2:3], v[0:1], off
	v_and_b32_e32 v0, 0xffffff, v0
	v_readfirstlane_b32 m0, v0
	s_sendmsg sendmsg(MSG_INTERRUPT)
.LBB5_1563:
	s_or_b64 exec, exec, s[12:13]
	s_branch .LBB5_1567
.LBB5_1564:                             ;   in Loop: Header=BB5_1567 Depth=1
	s_or_b64 exec, exec, s[12:13]
	v_readfirstlane_b32 s12, v0
	s_cmp_eq_u32 s12, 0
	s_cbranch_scc1 .LBB5_1566
; %bb.1565:                             ;   in Loop: Header=BB5_1567 Depth=1
	s_sleep 1
	s_cbranch_execnz .LBB5_1567
	s_branch .LBB5_1569
.LBB5_1566:
	s_branch .LBB5_1569
.LBB5_1567:                             ; =>This Inner Loop Header: Depth=1
	v_mov_b32_e32 v0, 1
	s_and_saveexec_b64 s[12:13], s[4:5]
	s_cbranch_execz .LBB5_1564
; %bb.1568:                             ;   in Loop: Header=BB5_1567 Depth=1
	global_load_dword v0, v[8:9], off offset:20 glc
	s_waitcnt vmcnt(0)
	buffer_wbinvl1_vol
	v_and_b32_e32 v0, 1, v0
	s_branch .LBB5_1564
.LBB5_1569:
	s_and_saveexec_b64 s[12:13], s[4:5]
	s_cbranch_execz .LBB5_1572
; %bb.1570:
	v_mov_b32_e32 v6, 0
	global_load_dwordx2 v[2:3], v6, s[6:7] offset:40
	global_load_dwordx2 v[7:8], v6, s[6:7] offset:24 glc
	global_load_dwordx2 v[4:5], v6, s[6:7]
	v_mov_b32_e32 v1, s11
	s_mov_b64 s[4:5], 0
	s_waitcnt vmcnt(2)
	v_add_co_u32_e32 v9, vcc, 1, v2
	v_addc_co_u32_e32 v10, vcc, 0, v3, vcc
	v_add_co_u32_e32 v0, vcc, s10, v9
	v_addc_co_u32_e32 v1, vcc, v10, v1, vcc
	v_cmp_eq_u64_e32 vcc, 0, v[0:1]
	v_cndmask_b32_e32 v1, v1, v10, vcc
	v_cndmask_b32_e32 v0, v0, v9, vcc
	v_and_b32_e32 v3, v1, v3
	v_and_b32_e32 v2, v0, v2
	v_mul_lo_u32 v3, v3, 24
	v_mul_hi_u32 v9, v2, 24
	v_mul_lo_u32 v10, v2, 24
	s_waitcnt vmcnt(1)
	v_mov_b32_e32 v2, v7
	v_add_u32_e32 v3, v9, v3
	s_waitcnt vmcnt(0)
	v_add_co_u32_e32 v4, vcc, v4, v10
	v_addc_co_u32_e32 v5, vcc, v5, v3, vcc
	global_store_dwordx2 v[4:5], v[7:8], off
	v_mov_b32_e32 v3, v8
	s_waitcnt vmcnt(0)
	global_atomic_cmpswap_x2 v[2:3], v6, v[0:3], s[6:7] offset:24 glc
	s_waitcnt vmcnt(0)
	v_cmp_ne_u64_e32 vcc, v[2:3], v[7:8]
	s_and_b64 exec, exec, vcc
	s_cbranch_execz .LBB5_1572
.LBB5_1571:                             ; =>This Inner Loop Header: Depth=1
	s_sleep 1
	global_store_dwordx2 v[4:5], v[2:3], off
	s_waitcnt vmcnt(0)
	global_atomic_cmpswap_x2 v[7:8], v6, v[0:3], s[6:7] offset:24 glc
	s_waitcnt vmcnt(0)
	v_cmp_eq_u64_e32 vcc, v[7:8], v[2:3]
	v_mov_b32_e32 v2, v7
	s_or_b64 s[4:5], vcc, s[4:5]
	v_mov_b32_e32 v3, v8
	s_andn2_b64 exec, exec, s[4:5]
	s_cbranch_execnz .LBB5_1571
.LBB5_1572:
	s_or_b64 exec, exec, s[12:13]
.LBB5_1573:
	s_getpc_b64 s[4:5]
	s_add_u32 s4, s4, .str.16@rel32@lo+4
	s_addc_u32 s5, s5, .str.16@rel32@hi+12
	s_waitcnt vmcnt(0)
	v_mov_b32_e32 v0, s4
	v_mov_b32_e32 v1, s5
	s_mov_b64 s[24:25], src_private_base
	s_getpc_b64 s[50:51]
	s_add_u32 s50, s50, _ZNK8migraphx13basic_printerIZNS_4coutEvEUlT_E_ElsEPKc@rel32@lo+4
	s_addc_u32 s51, s51, _ZNK8migraphx13basic_printerIZNS_4coutEvEUlT_E_ElsEPKc@rel32@hi+12
	s_mov_b64 s[42:43], s[8:9]
	s_swappc_b64 s[30:31], s[50:51]
	s_getpc_b64 s[4:5]
	s_add_u32 s4, s4, .str.3@rel32@lo+4
	s_addc_u32 s5, s5, .str.3@rel32@hi+12
	s_mov_b64 s[8:9], s[42:43]
	v_mov_b32_e32 v0, s4
	v_mov_b32_e32 v1, s5
	s_swappc_b64 s[30:31], s[50:51]
	v_lshrrev_b32_e64 v0, 6, s33
	s_mov_b64 s[8:9], s[42:43]
	v_add_u32_e32 v0, 0x48, v0
	v_mov_b32_e32 v1, s25
	s_getpc_b64 s[4:5]
	s_add_u32 s4, s4, _ZN8migraphx4testlsIKNS_13basic_printerIZNS_4coutEvEUlT_E_EEEERS3_S7_RKNS0_10expressionINS0_14lhs_expressionIRNS_5arrayIiLj6EEENS0_3nopEEESC_NS0_5equalEEE@rel32@lo+4
	s_addc_u32 s5, s5, _ZN8migraphx4testlsIKNS_13basic_printerIZNS_4coutEvEUlT_E_EEEERS3_S7_RKNS0_10expressionINS0_14lhs_expressionIRNS_5arrayIiLj6EEENS0_3nopEEESC_NS0_5equalEEE@rel32@hi+12
	s_swappc_b64 s[30:31], s[4:5]
	s_getpc_b64 s[4:5]
	s_add_u32 s4, s4, .str.4@rel32@lo+4
	s_addc_u32 s5, s5, .str.4@rel32@hi+12
	s_mov_b64 s[8:9], s[42:43]
	v_mov_b32_e32 v0, s4
	v_mov_b32_e32 v1, s5
	s_swappc_b64 s[30:31], s[50:51]
	s_mov_b64 s[8:9], s[42:43]
	v_mov_b32_e32 v0, 10
	s_getpc_b64 s[4:5]
	s_add_u32 s4, s4, _ZNK8migraphx13basic_printerIZNS_4coutEvEUlT_E_ElsEc@rel32@lo+4
	s_addc_u32 s5, s5, _ZNK8migraphx13basic_printerIZNS_4coutEvEUlT_E_ElsEc@rel32@hi+12
	s_swappc_b64 s[30:31], s[4:5]
	flat_load_dwordx2 v[0:1], v[42:43]
	s_mov_b64 s[8:9], s[42:43]
	s_mov_b32 s14, s49
	s_mov_b32 s13, s48
	;; [unrolled: 1-line block ×3, first 2 shown]
	s_waitcnt vmcnt(0) lgkmcnt(0)
	flat_load_dword v2, v[0:1]
	s_waitcnt vmcnt(0) lgkmcnt(0)
	v_add_u32_e32 v2, 1, v2
	flat_store_dword v[0:1], v2
.LBB5_1574:
	s_or_b64 exec, exec, s[46:47]
	s_getpc_b64 s[4:5]
	s_add_u32 s4, s4, _ZN8migraphx4test4failEv@rel32@lo+4
	s_addc_u32 s5, s5, _ZN8migraphx4test4failEv@rel32@hi+12
	s_swappc_b64 s[30:31], s[4:5]
	; divergent unreachable
.LBB5_1575:
	s_andn2_saveexec_b64 s[4:5], s[44:45]
	s_or_b64 exec, exec, s[4:5]
	v_readlane_b32 s30, v44, 0
	v_readlane_b32 s31, v44, 1
	v_readlane_b32 s4, v44, 2
	s_or_saveexec_b64 s[6:7], -1
	buffer_load_dword v44, off, s[0:3], s33 offset:88 ; 4-byte Folded Reload
	s_mov_b64 exec, s[6:7]
	s_addk_i32 s32, 0xe800
	s_mov_b32 s33, s4
	s_waitcnt vmcnt(0)
	s_setpc_b64 s[30:31]
.Lfunc_end5:
	.size	_ZL21merge_different_sizesRN8migraphx4test12test_managerE, .Lfunc_end5-_ZL21merge_different_sizesRN8migraphx4test12test_managerE
                                        ; -- End function
	.section	.AMDGPU.csdata,"",@progbits
; Function info:
; codeLenInByte = 53968
; NumSgprs: 56
; NumVgprs: 56
; ScratchSize: 112
; MemoryBound: 0
	.text
	.protected	gpu_test_kernel         ; -- Begin function gpu_test_kernel
	.globl	gpu_test_kernel
	.p2align	8
	.type	gpu_test_kernel,@function
gpu_test_kernel:                        ; @gpu_test_kernel
; %bb.0:
	s_mov_b64 s[54:55], s[4:5]
	s_load_dwordx2 s[4:5], s[6:7], 0x8
	s_load_dword s59, s[6:7], 0x0
	s_add_u32 flat_scratch_lo, s8, s13
	s_addc_u32 flat_scratch_hi, s9, 0
	s_add_u32 s0, s0, s13
	s_addc_u32 s1, s1, 0
	v_mov_b32_e32 v45, v0
	s_waitcnt lgkmcnt(0)
	v_mov_b32_e32 v0, s5
	buffer_store_dword v0, off, s[0:3], 0 offset:84
	v_mov_b32_e32 v0, s4
	s_mov_b32 s56, s12
	s_mov_b32 s57, s11
	;; [unrolled: 1-line block ×3, first 2 shown]
	s_mov_b64 s[52:53], s[6:7]
	v_mov_b32_e32 v46, v2
	v_mov_b32_e32 v47, v1
	s_cmp_lt_i32 s59, 4
	s_movk_i32 s32, 0x1800
	buffer_store_dword v0, off, s[0:3], 0 offset:80
	s_cbranch_scc1 .LBB6_9
; %bb.1:
	s_mov_b64 s[60:61], src_private_base
	s_cmp_lt_i32 s59, 5
	s_mov_b64 s[4:5], -1
	s_cbranch_scc1 .LBB6_5
; %bb.2:
	s_cmp_eq_u32 s59, 5
	s_cbranch_scc0 .LBB6_4
; %bb.3:
	s_add_u32 s8, s52, 16
	s_addc_u32 s9, s53, 0
	s_mov_b32 s12, s58
	s_mov_b32 s13, s57
	;; [unrolled: 1-line block ×3, first 2 shown]
	v_mov_b32_e32 v31, v45
	v_mov_b32_e32 v0, 0x50
	;; [unrolled: 1-line block ×3, first 2 shown]
	s_getpc_b64 s[4:5]
	s_add_u32 s4, s4, _ZL21merge_different_sizesRN8migraphx4test12test_managerE@rel32@lo+4
	s_addc_u32 s5, s5, _ZL21merge_different_sizesRN8migraphx4test12test_managerE@rel32@hi+12
	s_swappc_b64 s[30:31], s[4:5]
.LBB6_4:
	s_mov_b64 s[4:5], 0
.LBB6_5:
	s_andn2_b64 vcc, exec, s[4:5]
	s_cbranch_vccnz .LBB6_7
; %bb.6:
	s_add_u32 s8, s52, 16
	s_addc_u32 s9, s53, 0
	s_mov_b32 s12, s58
	s_mov_b32 s13, s57
	;; [unrolled: 1-line block ×3, first 2 shown]
	v_mov_b32_e32 v31, v45
	v_mov_b32_e32 v0, 0x50
	;; [unrolled: 1-line block ×3, first 2 shown]
	s_getpc_b64 s[4:5]
	s_add_u32 s4, s4, _ZL16merge_duplicatesRN8migraphx4test12test_managerE@rel32@lo+4
	s_addc_u32 s5, s5, _ZL16merge_duplicatesRN8migraphx4test12test_managerE@rel32@hi+12
	s_swappc_b64 s[30:31], s[4:5]
.LBB6_7:
	s_mov_b64 s[4:5], -1
	s_cbranch_execz .LBB6_10
.LBB6_8:
	s_and_saveexec_b64 s[6:7], s[4:5]
	s_endpgm
.LBB6_9:
	s_mov_b64 s[4:5], 0
.LBB6_10:
	s_cmp_eq_u32 s59, 3
	s_mov_b64 s[4:5], -1
	s_cbranch_scc0 .LBB6_8
; %bb.11:
	s_load_dwordx2 s[4:5], s[54:55], 0x4
	v_mov_b32_e32 v1, 1
	buffer_store_dword v1, off, s[0:3], 0
	v_mov_b32_e32 v0, 3
	v_mov_b32_e32 v2, 5
	s_waitcnt lgkmcnt(0)
	s_lshr_b32 s4, s4, 16
	s_mul_i32 s4, s4, s5
	v_mul_lo_u32 v1, s4, v45
	buffer_store_dword v0, off, s[0:3], 0 offset:4
	buffer_store_dword v2, off, s[0:3], 0 offset:8
	v_mul_u32_u24_e32 v0, s5, v47
	v_mov_b32_e32 v3, 0
	v_add3_u32 v2, v1, v0, v46
	v_mov_b32_e32 v0, 7
	v_lshlrev_b32_e32 v5, 3, v2
	buffer_store_dword v0, off, s[0:3], 0 offset:12
	v_mov_b32_e32 v0, 2
	v_mov_b32_e32 v1, 6
	;; [unrolled: 1-line block ×3, first 2 shown]
	s_mov_b64 s[4:5], 0
	v_mov_b32_e32 v6, 0
	ds_write2_b32 v5, v0, v1 offset1:1
	buffer_store_dword v3, off, s[0:3], 0 offset:16
	buffer_store_dword v3, off, s[0:3], 0 offset:20
	;; [unrolled: 1-line block ×6, first 2 shown]
                                        ; implicit-def: $sgpr6_sgpr7
                                        ; implicit-def: $sgpr10_sgpr11
                                        ; implicit-def: $sgpr8_sgpr9
	s_branch .LBB6_13
.LBB6_12:                               ;   in Loop: Header=BB6_13 Depth=1
	s_or_b64 exec, exec, s[12:13]
	s_and_b64 s[12:13], exec, s[10:11]
	s_or_b64 s[4:5], s[12:13], s[4:5]
	s_andn2_b64 s[6:7], s[6:7], exec
	s_and_b64 s[12:13], s[8:9], exec
	s_or_b64 s[6:7], s[6:7], s[12:13]
	s_andn2_b64 exec, exec, s[4:5]
	s_cbranch_execz .LBB6_15
.LBB6_13:                               ; =>This Inner Loop Header: Depth=1
	v_mov_b32_e32 v1, v6
	v_mov_b32_e32 v0, v4
	v_cmp_ne_u32_e32 vcc, 8, v3
	s_or_b64 s[8:9], s[8:9], exec
	s_or_b64 s[10:11], s[10:11], exec
                                        ; implicit-def: $vgpr6
                                        ; implicit-def: $vgpr4
	s_and_saveexec_b64 s[12:13], vcc
	s_cbranch_execz .LBB6_12
; %bb.14:                               ;   in Loop: Header=BB6_13 Depth=1
	v_add_u32_e32 v4, 0, v1
	buffer_load_dword v6, v4, s[0:3], 0 offen
	v_add_u32_e32 v4, v5, v3
	ds_read_b32 v7, v4
	s_andn2_b64 s[10:11], s[10:11], exec
	v_add_u32_e32 v4, 4, v0
	s_andn2_b64 s[8:9], s[8:9], exec
	s_waitcnt vmcnt(0) lgkmcnt(0)
	v_cmp_ge_i32_e32 vcc, v7, v6
	v_cndmask_b32_e64 v9, 0, 1, vcc
	v_min_i32_e32 v8, v7, v6
	v_cmp_lt_i32_e32 vcc, v7, v6
	v_lshl_add_u32 v6, v9, 2, v1
	v_cndmask_b32_e64 v7, 0, 1, vcc
	v_cmp_eq_u32_e32 vcc, 16, v6
	s_and_b64 s[14:15], vcc, exec
	v_lshl_add_u32 v3, v7, 2, v3
	s_or_b64 s[10:11], s[10:11], s[14:15]
	buffer_store_dword v8, v0, s[0:3], 0 offen
	s_branch .LBB6_12
.LBB6_15:
	s_or_b64 exec, exec, s[4:5]
	s_xor_b64 s[4:5], s[6:7], -1
	s_and_saveexec_b64 s[6:7], s[4:5]
	s_xor_b64 s[4:5], exec, s[6:7]
	s_cbranch_execz .LBB6_20
; %bb.16:
	v_cmp_ne_u32_e32 vcc, 8, v3
	s_and_saveexec_b64 s[6:7], vcc
	s_cbranch_execz .LBB6_19
; %bb.17:
	v_sub_u32_e32 v5, 8, v3
	v_lshl_add_u32 v2, v2, 3, v3
	s_mov_b32 s10, 0
	s_mov_b64 s[8:9], 0
.LBB6_18:                               ; =>This Inner Loop Header: Depth=1
	v_add_u32_e32 v3, s10, v2
	ds_read_b32 v3, v3
	v_add_u32_e32 v6, s10, v4
	s_add_i32 s10, s10, 4
	v_cmp_eq_u32_e32 vcc, s10, v5
	s_or_b64 s[8:9], vcc, s[8:9]
	s_waitcnt lgkmcnt(0)
	buffer_store_dword v3, v6, s[0:3], 0 offen
	s_andn2_b64 exec, exec, s[8:9]
	s_cbranch_execnz .LBB6_18
.LBB6_19:
	s_or_b64 exec, exec, s[6:7]
.LBB6_20:
	s_andn2_saveexec_b64 s[4:5], s[4:5]
	s_cbranch_execz .LBB6_24
; %bb.21:
	v_sub_u32_e32 v2, 16, v1
	v_add_u32_e32 v1, 0, v1
	s_mov_b32 s8, 0
	s_mov_b64 s[6:7], 0
.LBB6_22:                               ; =>This Inner Loop Header: Depth=1
	v_add_u32_e32 v3, s8, v1
	buffer_load_dword v3, v3, s[0:3], 0 offen
	v_add_u32_e32 v4, s8, v0
	s_add_i32 s8, s8, 4
	v_cmp_eq_u32_e32 vcc, s8, v2
	s_or_b64 s[6:7], vcc, s[6:7]
	s_waitcnt vmcnt(0)
	buffer_store_dword v3, v4, s[0:3], 0 offen
	s_andn2_b64 exec, exec, s[6:7]
	s_cbranch_execnz .LBB6_22
; %bb.23:
	s_or_b64 exec, exec, s[6:7]
.LBB6_24:
	s_or_b64 exec, exec, s[4:5]
	buffer_load_dword v0, off, s[0:3], 0 offset:32
	buffer_load_dword v1, off, s[0:3], 0 offset:36
	;; [unrolled: 1-line block ×6, first 2 shown]
	s_mov_b64 s[4:5], src_private_base
	v_mov_b32_e32 v6, 1
	v_mov_b32_e32 v7, 2
	;; [unrolled: 1-line block ×6, first 2 shown]
	buffer_store_dword v6, off, s[0:3], 0 offset:40
	buffer_store_dword v7, off, s[0:3], 0 offset:44
	;; [unrolled: 1-line block ×6, first 2 shown]
	v_mov_b32_e32 v6, s5
	v_mov_b32_e32 v12, 16
	;; [unrolled: 1-line block ×3, first 2 shown]
	buffer_store_dword v12, off, s[0:3], 0 offset:64
	buffer_store_dword v13, off, s[0:3], 0 offset:72
	;; [unrolled: 1-line block ×4, first 2 shown]
	s_waitcnt vmcnt(15)
	v_cmp_ne_u32_e32 vcc, 6, v0
	s_waitcnt vmcnt(14)
	v_cmp_ne_u32_e64 s[4:5], 7, v1
	s_waitcnt vmcnt(13)
	v_cmp_ne_u32_e64 s[6:7], 3, v2
	v_cndmask_b32_e64 v0, 0, 1, s[6:7]
	s_waitcnt vmcnt(12)
	v_cmp_ne_u32_e64 s[6:7], 5, v3
	v_cndmask_b32_e64 v1, 0, 1, s[6:7]
	;; [unrolled: 3-line block ×4, first 2 shown]
	v_lshlrev_b16_e32 v0, 2, v0
	v_lshlrev_b16_e32 v1, 3, v1
	;; [unrolled: 1-line block ×3, first 2 shown]
	v_or_b32_e32 v0, v1, v0
	v_or_b32_e32 v1, v3, v2
	v_and_b32_e32 v1, 3, v1
	v_or_b32_e32 v0, v1, v0
	v_and_b32_e32 v0, 15, v0
	v_cmp_ne_u16_e64 s[6:7], 0, v0
	s_or_b64 s[6:7], s[6:7], vcc
	s_or_b64 s[4:5], s[6:7], s[4:5]
	s_and_saveexec_b64 s[6:7], s[4:5]
	s_xor_b64 s[44:45], exec, s[6:7]
	s_cbranch_execz .LBB6_1585
; %bb.25:
	v_cmp_eq_u32_e32 vcc, 0, v45
	s_and_saveexec_b64 s[46:47], vcc
	s_cbranch_execz .LBB6_1584
; %bb.26:
	s_load_dwordx2 s[6:7], s[52:53], 0x60
	v_mbcnt_lo_u32_b32 v0, -1, 0
	v_mbcnt_hi_u32_b32 v32, -1, v0
	v_readfirstlane_b32 s4, v32
	v_mov_b32_e32 v5, 0
	v_mov_b32_e32 v6, 0
	v_cmp_eq_u32_e64 s[4:5], s4, v32
	s_and_saveexec_b64 s[8:9], s[4:5]
	s_cbranch_execz .LBB6_32
; %bb.27:
	v_mov_b32_e32 v0, 0
	s_waitcnt lgkmcnt(0)
	global_load_dwordx2 v[3:4], v0, s[6:7] offset:24 glc
	s_waitcnt vmcnt(0)
	buffer_wbinvl1_vol
	global_load_dwordx2 v[1:2], v0, s[6:7] offset:40
	global_load_dwordx2 v[5:6], v0, s[6:7]
	s_waitcnt vmcnt(1)
	v_and_b32_e32 v1, v1, v3
	v_and_b32_e32 v2, v2, v4
	v_mul_lo_u32 v2, v2, 24
	v_mul_hi_u32 v7, v1, 24
	v_mul_lo_u32 v1, v1, 24
	v_add_u32_e32 v2, v7, v2
	s_waitcnt vmcnt(0)
	v_add_co_u32_e32 v1, vcc, v5, v1
	v_addc_co_u32_e32 v2, vcc, v6, v2, vcc
	global_load_dwordx2 v[1:2], v[1:2], off glc
	s_waitcnt vmcnt(0)
	global_atomic_cmpswap_x2 v[5:6], v0, v[1:4], s[6:7] offset:24 glc
	s_waitcnt vmcnt(0)
	buffer_wbinvl1_vol
	v_cmp_ne_u64_e32 vcc, v[5:6], v[3:4]
	s_and_saveexec_b64 s[10:11], vcc
	s_cbranch_execz .LBB6_31
; %bb.28:
	s_mov_b64 s[12:13], 0
.LBB6_29:                               ; =>This Inner Loop Header: Depth=1
	s_sleep 1
	global_load_dwordx2 v[1:2], v0, s[6:7] offset:40
	global_load_dwordx2 v[7:8], v0, s[6:7]
	v_mov_b32_e32 v3, v5
	v_mov_b32_e32 v4, v6
	s_waitcnt vmcnt(1)
	v_and_b32_e32 v1, v1, v3
	s_waitcnt vmcnt(0)
	v_mad_u64_u32 v[5:6], s[14:15], v1, 24, v[7:8]
	v_and_b32_e32 v2, v2, v4
	v_mov_b32_e32 v1, v6
	v_mad_u64_u32 v[1:2], s[14:15], v2, 24, v[1:2]
	v_mov_b32_e32 v6, v1
	global_load_dwordx2 v[1:2], v[5:6], off glc
	s_waitcnt vmcnt(0)
	global_atomic_cmpswap_x2 v[5:6], v0, v[1:4], s[6:7] offset:24 glc
	s_waitcnt vmcnt(0)
	buffer_wbinvl1_vol
	v_cmp_eq_u64_e32 vcc, v[5:6], v[3:4]
	s_or_b64 s[12:13], vcc, s[12:13]
	s_andn2_b64 exec, exec, s[12:13]
	s_cbranch_execnz .LBB6_29
; %bb.30:
	s_or_b64 exec, exec, s[12:13]
.LBB6_31:
	s_or_b64 exec, exec, s[10:11]
.LBB6_32:
	s_or_b64 exec, exec, s[8:9]
	v_mov_b32_e32 v4, 0
	s_waitcnt lgkmcnt(0)
	global_load_dwordx2 v[7:8], v4, s[6:7] offset:40
	global_load_dwordx4 v[0:3], v4, s[6:7]
	v_readfirstlane_b32 s8, v5
	v_readfirstlane_b32 s9, v6
	s_mov_b64 s[10:11], exec
	s_waitcnt vmcnt(1)
	v_readfirstlane_b32 s12, v7
	v_readfirstlane_b32 s13, v8
	s_and_b64 s[12:13], s[8:9], s[12:13]
	s_mul_i32 s14, s13, 24
	s_mul_hi_u32 s15, s12, 24
	s_mul_i32 s16, s12, 24
	s_add_i32 s14, s15, s14
	v_mov_b32_e32 v5, s14
	s_waitcnt vmcnt(0)
	v_add_co_u32_e32 v7, vcc, s16, v0
	v_addc_co_u32_e32 v8, vcc, v1, v5, vcc
	s_and_saveexec_b64 s[14:15], s[4:5]
	s_cbranch_execz .LBB6_34
; %bb.33:
	v_mov_b32_e32 v9, s10
	v_mov_b32_e32 v10, s11
	;; [unrolled: 1-line block ×4, first 2 shown]
	global_store_dwordx4 v[7:8], v[9:12], off offset:8
.LBB6_34:
	s_or_b64 exec, exec, s[14:15]
	s_lshl_b64 s[10:11], s[12:13], 12
	v_mov_b32_e32 v5, s11
	v_add_co_u32_e32 v2, vcc, s10, v2
	v_addc_co_u32_e32 v11, vcc, v3, v5, vcc
	s_mov_b32 s12, 0
	v_lshlrev_b32_e32 v31, 6, v32
	v_mov_b32_e32 v3, 33
	v_mov_b32_e32 v5, v4
	;; [unrolled: 1-line block ×3, first 2 shown]
	v_readfirstlane_b32 s10, v2
	v_readfirstlane_b32 s11, v11
	v_add_co_u32_e32 v9, vcc, v2, v31
	s_mov_b32 s13, s12
	s_mov_b32 s14, s12
	;; [unrolled: 1-line block ×3, first 2 shown]
	s_nop 0
	global_store_dwordx4 v31, v[3:6], s[10:11]
	v_mov_b32_e32 v2, s12
	v_addc_co_u32_e32 v10, vcc, 0, v11, vcc
	v_mov_b32_e32 v3, s13
	v_mov_b32_e32 v4, s14
	v_mov_b32_e32 v5, s15
	global_store_dwordx4 v31, v[2:5], s[10:11] offset:16
	global_store_dwordx4 v31, v[2:5], s[10:11] offset:32
	;; [unrolled: 1-line block ×3, first 2 shown]
	s_and_saveexec_b64 s[10:11], s[4:5]
	s_cbranch_execz .LBB6_42
; %bb.35:
	v_mov_b32_e32 v6, 0
	global_load_dwordx2 v[13:14], v6, s[6:7] offset:32 glc
	global_load_dwordx2 v[2:3], v6, s[6:7] offset:40
	v_mov_b32_e32 v11, s8
	v_mov_b32_e32 v12, s9
	s_waitcnt vmcnt(0)
	v_and_b32_e32 v2, s8, v2
	v_and_b32_e32 v3, s9, v3
	v_mul_lo_u32 v3, v3, 24
	v_mul_hi_u32 v4, v2, 24
	v_mul_lo_u32 v2, v2, 24
	v_add_u32_e32 v3, v4, v3
	v_add_co_u32_e32 v4, vcc, v0, v2
	v_addc_co_u32_e32 v5, vcc, v1, v3, vcc
	global_store_dwordx2 v[4:5], v[13:14], off
	s_waitcnt vmcnt(0)
	global_atomic_cmpswap_x2 v[2:3], v6, v[11:14], s[6:7] offset:32 glc
	s_waitcnt vmcnt(0)
	v_cmp_ne_u64_e32 vcc, v[2:3], v[13:14]
	s_and_saveexec_b64 s[12:13], vcc
	s_cbranch_execz .LBB6_38
; %bb.36:
	s_mov_b64 s[14:15], 0
.LBB6_37:                               ; =>This Inner Loop Header: Depth=1
	s_sleep 1
	global_store_dwordx2 v[4:5], v[2:3], off
	v_mov_b32_e32 v0, s8
	v_mov_b32_e32 v1, s9
	s_waitcnt vmcnt(0)
	global_atomic_cmpswap_x2 v[0:1], v6, v[0:3], s[6:7] offset:32 glc
	s_waitcnt vmcnt(0)
	v_cmp_eq_u64_e32 vcc, v[0:1], v[2:3]
	v_mov_b32_e32 v3, v1
	s_or_b64 s[14:15], vcc, s[14:15]
	v_mov_b32_e32 v2, v0
	s_andn2_b64 exec, exec, s[14:15]
	s_cbranch_execnz .LBB6_37
.LBB6_38:
	s_or_b64 exec, exec, s[12:13]
	v_mov_b32_e32 v3, 0
	global_load_dwordx2 v[0:1], v3, s[6:7] offset:16
	s_mov_b64 s[12:13], exec
	v_mbcnt_lo_u32_b32 v2, s12, 0
	v_mbcnt_hi_u32_b32 v2, s13, v2
	v_cmp_eq_u32_e32 vcc, 0, v2
	s_and_saveexec_b64 s[14:15], vcc
	s_cbranch_execz .LBB6_40
; %bb.39:
	s_bcnt1_i32_b64 s12, s[12:13]
	v_mov_b32_e32 v2, s12
	s_waitcnt vmcnt(0)
	global_atomic_add_x2 v[0:1], v[2:3], off offset:8
.LBB6_40:
	s_or_b64 exec, exec, s[14:15]
	s_waitcnt vmcnt(0)
	global_load_dwordx2 v[2:3], v[0:1], off offset:16
	s_waitcnt vmcnt(0)
	v_cmp_eq_u64_e32 vcc, 0, v[2:3]
	s_cbranch_vccnz .LBB6_42
; %bb.41:
	global_load_dword v0, v[0:1], off offset:24
	v_mov_b32_e32 v1, 0
	s_waitcnt vmcnt(0)
	global_store_dwordx2 v[2:3], v[0:1], off
	v_and_b32_e32 v0, 0xffffff, v0
	v_readfirstlane_b32 m0, v0
	s_sendmsg sendmsg(MSG_INTERRUPT)
.LBB6_42:
	s_or_b64 exec, exec, s[10:11]
	s_branch .LBB6_46
.LBB6_43:                               ;   in Loop: Header=BB6_46 Depth=1
	s_or_b64 exec, exec, s[10:11]
	v_readfirstlane_b32 s10, v0
	s_cmp_eq_u32 s10, 0
	s_cbranch_scc1 .LBB6_45
; %bb.44:                               ;   in Loop: Header=BB6_46 Depth=1
	s_sleep 1
	s_cbranch_execnz .LBB6_46
	s_branch .LBB6_48
.LBB6_45:
	s_branch .LBB6_48
.LBB6_46:                               ; =>This Inner Loop Header: Depth=1
	v_mov_b32_e32 v0, 1
	s_and_saveexec_b64 s[10:11], s[4:5]
	s_cbranch_execz .LBB6_43
; %bb.47:                               ;   in Loop: Header=BB6_46 Depth=1
	global_load_dword v0, v[7:8], off offset:20 glc
	s_waitcnt vmcnt(0)
	buffer_wbinvl1_vol
	v_and_b32_e32 v0, 1, v0
	s_branch .LBB6_43
.LBB6_48:
	global_load_dwordx2 v[4:5], v[9:10], off
	s_and_saveexec_b64 s[10:11], s[4:5]
	s_cbranch_execz .LBB6_51
; %bb.49:
	v_mov_b32_e32 v8, 0
	global_load_dwordx2 v[2:3], v8, s[6:7] offset:40
	global_load_dwordx2 v[9:10], v8, s[6:7] offset:24 glc
	global_load_dwordx2 v[6:7], v8, s[6:7]
	v_mov_b32_e32 v1, s9
	s_mov_b64 s[4:5], 0
	s_waitcnt vmcnt(2)
	v_add_co_u32_e32 v11, vcc, 1, v2
	v_addc_co_u32_e32 v12, vcc, 0, v3, vcc
	v_add_co_u32_e32 v0, vcc, s8, v11
	v_addc_co_u32_e32 v1, vcc, v12, v1, vcc
	v_cmp_eq_u64_e32 vcc, 0, v[0:1]
	v_cndmask_b32_e32 v1, v1, v12, vcc
	v_cndmask_b32_e32 v0, v0, v11, vcc
	v_and_b32_e32 v3, v1, v3
	v_and_b32_e32 v2, v0, v2
	v_mul_lo_u32 v3, v3, 24
	v_mul_hi_u32 v11, v2, 24
	v_mul_lo_u32 v12, v2, 24
	s_waitcnt vmcnt(1)
	v_mov_b32_e32 v2, v9
	v_add_u32_e32 v3, v11, v3
	s_waitcnt vmcnt(0)
	v_add_co_u32_e32 v6, vcc, v6, v12
	v_addc_co_u32_e32 v7, vcc, v7, v3, vcc
	global_store_dwordx2 v[6:7], v[9:10], off
	v_mov_b32_e32 v3, v10
	s_waitcnt vmcnt(0)
	global_atomic_cmpswap_x2 v[2:3], v8, v[0:3], s[6:7] offset:24 glc
	s_waitcnt vmcnt(0)
	v_cmp_ne_u64_e32 vcc, v[2:3], v[9:10]
	s_and_b64 exec, exec, vcc
	s_cbranch_execz .LBB6_51
.LBB6_50:                               ; =>This Inner Loop Header: Depth=1
	s_sleep 1
	global_store_dwordx2 v[6:7], v[2:3], off
	s_waitcnt vmcnt(0)
	global_atomic_cmpswap_x2 v[9:10], v8, v[0:3], s[6:7] offset:24 glc
	s_waitcnt vmcnt(0)
	v_cmp_eq_u64_e32 vcc, v[9:10], v[2:3]
	v_mov_b32_e32 v2, v9
	s_or_b64 s[4:5], vcc, s[4:5]
	v_mov_b32_e32 v3, v10
	s_andn2_b64 exec, exec, s[4:5]
	s_cbranch_execnz .LBB6_50
.LBB6_51:
	s_or_b64 exec, exec, s[10:11]
	s_getpc_b64 s[10:11]
	s_add_u32 s10, s10, .str.5@rel32@lo+4
	s_addc_u32 s11, s11, .str.5@rel32@hi+12
	s_cmp_lg_u64 s[10:11], 0
	s_cselect_b64 s[8:9], -1, 0
	s_and_b64 vcc, exec, s[8:9]
	s_cbranch_vccz .LBB6_136
; %bb.52:
	s_waitcnt vmcnt(0)
	v_and_b32_e32 v29, 2, v4
	v_mov_b32_e32 v26, 0
	v_and_b32_e32 v0, -3, v4
	v_mov_b32_e32 v1, v5
	s_mov_b64 s[12:13], 3
	v_mov_b32_e32 v8, 2
	v_mov_b32_e32 v9, 1
	s_branch .LBB6_54
.LBB6_53:                               ;   in Loop: Header=BB6_54 Depth=1
	s_or_b64 exec, exec, s[18:19]
	s_sub_u32 s12, s12, s14
	s_subb_u32 s13, s13, s15
	s_add_u32 s10, s10, s14
	s_addc_u32 s11, s11, s15
	s_cmp_lg_u64 s[12:13], 0
	s_cbranch_scc0 .LBB6_135
.LBB6_54:                               ; =>This Loop Header: Depth=1
                                        ;     Child Loop BB6_57 Depth 2
                                        ;     Child Loop BB6_64 Depth 2
	;; [unrolled: 1-line block ×11, first 2 shown]
	v_cmp_lt_u64_e64 s[4:5], s[12:13], 56
	v_cmp_gt_u64_e64 s[16:17], s[12:13], 7
	s_and_b64 s[4:5], s[4:5], exec
	s_cselect_b32 s15, s13, 0
	s_cselect_b32 s14, s12, 56
	s_and_b64 vcc, exec, s[16:17]
	s_cbranch_vccnz .LBB6_59
; %bb.55:                               ;   in Loop: Header=BB6_54 Depth=1
	s_waitcnt vmcnt(0)
	v_mov_b32_e32 v2, 0
	s_cmp_eq_u64 s[12:13], 0
	v_mov_b32_e32 v3, 0
	s_mov_b64 s[4:5], 0
	s_cbranch_scc1 .LBB6_58
; %bb.56:                               ;   in Loop: Header=BB6_54 Depth=1
	v_mov_b32_e32 v2, 0
	s_lshl_b64 s[16:17], s[14:15], 3
	s_mov_b64 s[18:19], 0
	v_mov_b32_e32 v3, 0
	s_mov_b64 s[20:21], s[10:11]
.LBB6_57:                               ;   Parent Loop BB6_54 Depth=1
                                        ; =>  This Inner Loop Header: Depth=2
	global_load_ubyte v6, v26, s[20:21]
	s_waitcnt vmcnt(0)
	v_and_b32_e32 v25, 0xffff, v6
	v_lshlrev_b64 v[6:7], s18, v[25:26]
	s_add_u32 s18, s18, 8
	s_addc_u32 s19, s19, 0
	s_add_u32 s20, s20, 1
	s_addc_u32 s21, s21, 0
	v_or_b32_e32 v2, v6, v2
	s_cmp_lg_u32 s16, s18
	v_or_b32_e32 v3, v7, v3
	s_cbranch_scc1 .LBB6_57
.LBB6_58:                               ;   in Loop: Header=BB6_54 Depth=1
	s_mov_b32 s20, 0
	s_andn2_b64 vcc, exec, s[4:5]
	s_mov_b64 s[4:5], s[10:11]
	s_cbranch_vccz .LBB6_60
	s_branch .LBB6_61
.LBB6_59:                               ;   in Loop: Header=BB6_54 Depth=1
                                        ; implicit-def: $vgpr2_vgpr3
                                        ; implicit-def: $sgpr20
	s_mov_b64 s[4:5], s[10:11]
.LBB6_60:                               ;   in Loop: Header=BB6_54 Depth=1
	global_load_dwordx2 v[2:3], v26, s[10:11]
	s_add_i32 s20, s14, -8
	s_add_u32 s4, s10, 8
	s_addc_u32 s5, s11, 0
.LBB6_61:                               ;   in Loop: Header=BB6_54 Depth=1
	s_cmp_gt_u32 s20, 7
	s_cbranch_scc1 .LBB6_65
; %bb.62:                               ;   in Loop: Header=BB6_54 Depth=1
	s_cmp_eq_u32 s20, 0
	s_cbranch_scc1 .LBB6_66
; %bb.63:                               ;   in Loop: Header=BB6_54 Depth=1
	v_mov_b32_e32 v10, 0
	s_mov_b64 s[16:17], 0
	v_mov_b32_e32 v11, 0
	s_mov_b64 s[18:19], 0
.LBB6_64:                               ;   Parent Loop BB6_54 Depth=1
                                        ; =>  This Inner Loop Header: Depth=2
	s_add_u32 s22, s4, s18
	s_addc_u32 s23, s5, s19
	global_load_ubyte v6, v26, s[22:23]
	s_add_u32 s18, s18, 1
	s_addc_u32 s19, s19, 0
	s_waitcnt vmcnt(0)
	v_and_b32_e32 v25, 0xffff, v6
	v_lshlrev_b64 v[6:7], s16, v[25:26]
	s_add_u32 s16, s16, 8
	s_addc_u32 s17, s17, 0
	v_or_b32_e32 v10, v6, v10
	s_cmp_lg_u32 s20, s18
	v_or_b32_e32 v11, v7, v11
	s_cbranch_scc1 .LBB6_64
	s_branch .LBB6_67
.LBB6_65:                               ;   in Loop: Header=BB6_54 Depth=1
                                        ; implicit-def: $vgpr10_vgpr11
                                        ; implicit-def: $sgpr21
	s_branch .LBB6_68
.LBB6_66:                               ;   in Loop: Header=BB6_54 Depth=1
	v_mov_b32_e32 v10, 0
	v_mov_b32_e32 v11, 0
.LBB6_67:                               ;   in Loop: Header=BB6_54 Depth=1
	s_mov_b32 s21, 0
	s_cbranch_execnz .LBB6_69
.LBB6_68:                               ;   in Loop: Header=BB6_54 Depth=1
	global_load_dwordx2 v[10:11], v26, s[4:5]
	s_add_i32 s21, s20, -8
	s_add_u32 s4, s4, 8
	s_addc_u32 s5, s5, 0
.LBB6_69:                               ;   in Loop: Header=BB6_54 Depth=1
	s_cmp_gt_u32 s21, 7
	s_cbranch_scc1 .LBB6_73
; %bb.70:                               ;   in Loop: Header=BB6_54 Depth=1
	s_cmp_eq_u32 s21, 0
	s_cbranch_scc1 .LBB6_74
; %bb.71:                               ;   in Loop: Header=BB6_54 Depth=1
	v_mov_b32_e32 v12, 0
	s_mov_b64 s[16:17], 0
	v_mov_b32_e32 v13, 0
	s_mov_b64 s[18:19], 0
.LBB6_72:                               ;   Parent Loop BB6_54 Depth=1
                                        ; =>  This Inner Loop Header: Depth=2
	s_add_u32 s22, s4, s18
	s_addc_u32 s23, s5, s19
	global_load_ubyte v6, v26, s[22:23]
	s_add_u32 s18, s18, 1
	s_addc_u32 s19, s19, 0
	s_waitcnt vmcnt(0)
	v_and_b32_e32 v25, 0xffff, v6
	v_lshlrev_b64 v[6:7], s16, v[25:26]
	s_add_u32 s16, s16, 8
	s_addc_u32 s17, s17, 0
	v_or_b32_e32 v12, v6, v12
	s_cmp_lg_u32 s21, s18
	v_or_b32_e32 v13, v7, v13
	s_cbranch_scc1 .LBB6_72
	s_branch .LBB6_75
.LBB6_73:                               ;   in Loop: Header=BB6_54 Depth=1
                                        ; implicit-def: $sgpr20
	s_branch .LBB6_76
.LBB6_74:                               ;   in Loop: Header=BB6_54 Depth=1
	v_mov_b32_e32 v12, 0
	v_mov_b32_e32 v13, 0
.LBB6_75:                               ;   in Loop: Header=BB6_54 Depth=1
	s_mov_b32 s20, 0
	s_cbranch_execnz .LBB6_77
.LBB6_76:                               ;   in Loop: Header=BB6_54 Depth=1
	global_load_dwordx2 v[12:13], v26, s[4:5]
	s_add_i32 s20, s21, -8
	s_add_u32 s4, s4, 8
	s_addc_u32 s5, s5, 0
.LBB6_77:                               ;   in Loop: Header=BB6_54 Depth=1
	s_cmp_gt_u32 s20, 7
	s_cbranch_scc1 .LBB6_81
; %bb.78:                               ;   in Loop: Header=BB6_54 Depth=1
	s_cmp_eq_u32 s20, 0
	s_cbranch_scc1 .LBB6_82
; %bb.79:                               ;   in Loop: Header=BB6_54 Depth=1
	v_mov_b32_e32 v14, 0
	s_mov_b64 s[16:17], 0
	v_mov_b32_e32 v15, 0
	s_mov_b64 s[18:19], 0
.LBB6_80:                               ;   Parent Loop BB6_54 Depth=1
                                        ; =>  This Inner Loop Header: Depth=2
	s_add_u32 s22, s4, s18
	s_addc_u32 s23, s5, s19
	global_load_ubyte v6, v26, s[22:23]
	s_add_u32 s18, s18, 1
	s_addc_u32 s19, s19, 0
	s_waitcnt vmcnt(0)
	v_and_b32_e32 v25, 0xffff, v6
	v_lshlrev_b64 v[6:7], s16, v[25:26]
	s_add_u32 s16, s16, 8
	s_addc_u32 s17, s17, 0
	v_or_b32_e32 v14, v6, v14
	s_cmp_lg_u32 s20, s18
	v_or_b32_e32 v15, v7, v15
	s_cbranch_scc1 .LBB6_80
	s_branch .LBB6_83
.LBB6_81:                               ;   in Loop: Header=BB6_54 Depth=1
                                        ; implicit-def: $vgpr14_vgpr15
                                        ; implicit-def: $sgpr21
	s_branch .LBB6_84
.LBB6_82:                               ;   in Loop: Header=BB6_54 Depth=1
	v_mov_b32_e32 v14, 0
	v_mov_b32_e32 v15, 0
.LBB6_83:                               ;   in Loop: Header=BB6_54 Depth=1
	s_mov_b32 s21, 0
	s_cbranch_execnz .LBB6_85
.LBB6_84:                               ;   in Loop: Header=BB6_54 Depth=1
	global_load_dwordx2 v[14:15], v26, s[4:5]
	s_add_i32 s21, s20, -8
	s_add_u32 s4, s4, 8
	s_addc_u32 s5, s5, 0
.LBB6_85:                               ;   in Loop: Header=BB6_54 Depth=1
	s_cmp_gt_u32 s21, 7
	s_cbranch_scc1 .LBB6_89
; %bb.86:                               ;   in Loop: Header=BB6_54 Depth=1
	s_cmp_eq_u32 s21, 0
	s_cbranch_scc1 .LBB6_90
; %bb.87:                               ;   in Loop: Header=BB6_54 Depth=1
	v_mov_b32_e32 v16, 0
	s_mov_b64 s[16:17], 0
	v_mov_b32_e32 v17, 0
	s_mov_b64 s[18:19], 0
.LBB6_88:                               ;   Parent Loop BB6_54 Depth=1
                                        ; =>  This Inner Loop Header: Depth=2
	s_add_u32 s22, s4, s18
	s_addc_u32 s23, s5, s19
	global_load_ubyte v6, v26, s[22:23]
	s_add_u32 s18, s18, 1
	s_addc_u32 s19, s19, 0
	s_waitcnt vmcnt(0)
	v_and_b32_e32 v25, 0xffff, v6
	v_lshlrev_b64 v[6:7], s16, v[25:26]
	s_add_u32 s16, s16, 8
	s_addc_u32 s17, s17, 0
	v_or_b32_e32 v16, v6, v16
	s_cmp_lg_u32 s21, s18
	v_or_b32_e32 v17, v7, v17
	s_cbranch_scc1 .LBB6_88
	s_branch .LBB6_91
.LBB6_89:                               ;   in Loop: Header=BB6_54 Depth=1
                                        ; implicit-def: $sgpr20
	s_branch .LBB6_92
.LBB6_90:                               ;   in Loop: Header=BB6_54 Depth=1
	v_mov_b32_e32 v16, 0
	v_mov_b32_e32 v17, 0
.LBB6_91:                               ;   in Loop: Header=BB6_54 Depth=1
	s_mov_b32 s20, 0
	s_cbranch_execnz .LBB6_93
.LBB6_92:                               ;   in Loop: Header=BB6_54 Depth=1
	global_load_dwordx2 v[16:17], v26, s[4:5]
	s_add_i32 s20, s21, -8
	s_add_u32 s4, s4, 8
	s_addc_u32 s5, s5, 0
.LBB6_93:                               ;   in Loop: Header=BB6_54 Depth=1
	s_cmp_gt_u32 s20, 7
	s_cbranch_scc1 .LBB6_97
; %bb.94:                               ;   in Loop: Header=BB6_54 Depth=1
	s_cmp_eq_u32 s20, 0
	s_cbranch_scc1 .LBB6_98
; %bb.95:                               ;   in Loop: Header=BB6_54 Depth=1
	v_mov_b32_e32 v18, 0
	s_mov_b64 s[16:17], 0
	v_mov_b32_e32 v19, 0
	s_mov_b64 s[18:19], 0
.LBB6_96:                               ;   Parent Loop BB6_54 Depth=1
                                        ; =>  This Inner Loop Header: Depth=2
	s_add_u32 s22, s4, s18
	s_addc_u32 s23, s5, s19
	global_load_ubyte v6, v26, s[22:23]
	s_add_u32 s18, s18, 1
	s_addc_u32 s19, s19, 0
	s_waitcnt vmcnt(0)
	v_and_b32_e32 v25, 0xffff, v6
	v_lshlrev_b64 v[6:7], s16, v[25:26]
	s_add_u32 s16, s16, 8
	s_addc_u32 s17, s17, 0
	v_or_b32_e32 v18, v6, v18
	s_cmp_lg_u32 s20, s18
	v_or_b32_e32 v19, v7, v19
	s_cbranch_scc1 .LBB6_96
	s_branch .LBB6_99
.LBB6_97:                               ;   in Loop: Header=BB6_54 Depth=1
                                        ; implicit-def: $vgpr18_vgpr19
                                        ; implicit-def: $sgpr21
	s_branch .LBB6_100
.LBB6_98:                               ;   in Loop: Header=BB6_54 Depth=1
	v_mov_b32_e32 v18, 0
	v_mov_b32_e32 v19, 0
.LBB6_99:                               ;   in Loop: Header=BB6_54 Depth=1
	s_mov_b32 s21, 0
	s_cbranch_execnz .LBB6_101
.LBB6_100:                              ;   in Loop: Header=BB6_54 Depth=1
	global_load_dwordx2 v[18:19], v26, s[4:5]
	s_add_i32 s21, s20, -8
	s_add_u32 s4, s4, 8
	s_addc_u32 s5, s5, 0
.LBB6_101:                              ;   in Loop: Header=BB6_54 Depth=1
	s_cmp_gt_u32 s21, 7
	s_cbranch_scc1 .LBB6_105
; %bb.102:                              ;   in Loop: Header=BB6_54 Depth=1
	s_cmp_eq_u32 s21, 0
	s_cbranch_scc1 .LBB6_106
; %bb.103:                              ;   in Loop: Header=BB6_54 Depth=1
	v_mov_b32_e32 v20, 0
	s_mov_b64 s[16:17], 0
	v_mov_b32_e32 v21, 0
	s_mov_b64 s[18:19], s[4:5]
.LBB6_104:                              ;   Parent Loop BB6_54 Depth=1
                                        ; =>  This Inner Loop Header: Depth=2
	global_load_ubyte v6, v26, s[18:19]
	s_add_i32 s21, s21, -1
	s_waitcnt vmcnt(0)
	v_and_b32_e32 v25, 0xffff, v6
	v_lshlrev_b64 v[6:7], s16, v[25:26]
	s_add_u32 s16, s16, 8
	s_addc_u32 s17, s17, 0
	s_add_u32 s18, s18, 1
	s_addc_u32 s19, s19, 0
	v_or_b32_e32 v20, v6, v20
	s_cmp_lg_u32 s21, 0
	v_or_b32_e32 v21, v7, v21
	s_cbranch_scc1 .LBB6_104
	s_branch .LBB6_107
.LBB6_105:                              ;   in Loop: Header=BB6_54 Depth=1
	s_branch .LBB6_108
.LBB6_106:                              ;   in Loop: Header=BB6_54 Depth=1
	v_mov_b32_e32 v20, 0
	v_mov_b32_e32 v21, 0
.LBB6_107:                              ;   in Loop: Header=BB6_54 Depth=1
	s_cbranch_execnz .LBB6_109
.LBB6_108:                              ;   in Loop: Header=BB6_54 Depth=1
	global_load_dwordx2 v[20:21], v26, s[4:5]
.LBB6_109:                              ;   in Loop: Header=BB6_54 Depth=1
	v_readfirstlane_b32 s4, v32
	v_mov_b32_e32 v6, 0
	v_mov_b32_e32 v7, 0
	v_cmp_eq_u32_e64 s[4:5], s4, v32
	s_and_saveexec_b64 s[16:17], s[4:5]
	s_cbranch_execz .LBB6_115
; %bb.110:                              ;   in Loop: Header=BB6_54 Depth=1
	global_load_dwordx2 v[24:25], v26, s[6:7] offset:24 glc
	s_waitcnt vmcnt(0)
	buffer_wbinvl1_vol
	global_load_dwordx2 v[6:7], v26, s[6:7] offset:40
	global_load_dwordx2 v[22:23], v26, s[6:7]
	s_waitcnt vmcnt(1)
	v_and_b32_e32 v6, v6, v24
	v_and_b32_e32 v7, v7, v25
	v_mul_lo_u32 v7, v7, 24
	v_mul_hi_u32 v27, v6, 24
	v_mul_lo_u32 v6, v6, 24
	v_add_u32_e32 v7, v27, v7
	s_waitcnt vmcnt(0)
	v_add_co_u32_e32 v6, vcc, v22, v6
	v_addc_co_u32_e32 v7, vcc, v23, v7, vcc
	global_load_dwordx2 v[22:23], v[6:7], off glc
	s_waitcnt vmcnt(0)
	global_atomic_cmpswap_x2 v[6:7], v26, v[22:25], s[6:7] offset:24 glc
	s_waitcnt vmcnt(0)
	buffer_wbinvl1_vol
	v_cmp_ne_u64_e32 vcc, v[6:7], v[24:25]
	s_and_saveexec_b64 s[18:19], vcc
	s_cbranch_execz .LBB6_114
; %bb.111:                              ;   in Loop: Header=BB6_54 Depth=1
	s_mov_b64 s[20:21], 0
.LBB6_112:                              ;   Parent Loop BB6_54 Depth=1
                                        ; =>  This Inner Loop Header: Depth=2
	s_sleep 1
	global_load_dwordx2 v[22:23], v26, s[6:7] offset:40
	global_load_dwordx2 v[27:28], v26, s[6:7]
	v_mov_b32_e32 v25, v7
	v_mov_b32_e32 v24, v6
	s_waitcnt vmcnt(1)
	v_and_b32_e32 v6, v22, v24
	s_waitcnt vmcnt(0)
	v_mad_u64_u32 v[6:7], s[22:23], v6, 24, v[27:28]
	v_and_b32_e32 v22, v23, v25
	v_mad_u64_u32 v[22:23], s[22:23], v22, 24, v[7:8]
	v_mov_b32_e32 v7, v22
	global_load_dwordx2 v[22:23], v[6:7], off glc
	s_waitcnt vmcnt(0)
	global_atomic_cmpswap_x2 v[6:7], v26, v[22:25], s[6:7] offset:24 glc
	s_waitcnt vmcnt(0)
	buffer_wbinvl1_vol
	v_cmp_eq_u64_e32 vcc, v[6:7], v[24:25]
	s_or_b64 s[20:21], vcc, s[20:21]
	s_andn2_b64 exec, exec, s[20:21]
	s_cbranch_execnz .LBB6_112
; %bb.113:                              ;   in Loop: Header=BB6_54 Depth=1
	s_or_b64 exec, exec, s[20:21]
.LBB6_114:                              ;   in Loop: Header=BB6_54 Depth=1
	s_or_b64 exec, exec, s[18:19]
.LBB6_115:                              ;   in Loop: Header=BB6_54 Depth=1
	s_or_b64 exec, exec, s[16:17]
	global_load_dwordx2 v[27:28], v26, s[6:7] offset:40
	global_load_dwordx4 v[22:25], v26, s[6:7]
	v_readfirstlane_b32 s16, v6
	v_readfirstlane_b32 s17, v7
	s_mov_b64 s[20:21], exec
	s_waitcnt vmcnt(1)
	v_readfirstlane_b32 s18, v27
	v_readfirstlane_b32 s19, v28
	s_and_b64 s[18:19], s[16:17], s[18:19]
	s_mul_i32 s22, s19, 24
	s_mul_hi_u32 s23, s18, 24
	s_mul_i32 s24, s18, 24
	s_add_i32 s22, s23, s22
	v_mov_b32_e32 v6, s22
	s_waitcnt vmcnt(0)
	v_add_co_u32_e32 v27, vcc, s24, v22
	v_addc_co_u32_e32 v28, vcc, v23, v6, vcc
	s_and_saveexec_b64 s[22:23], s[4:5]
	s_cbranch_execz .LBB6_117
; %bb.116:                              ;   in Loop: Header=BB6_54 Depth=1
	v_mov_b32_e32 v6, s20
	v_mov_b32_e32 v7, s21
	global_store_dwordx4 v[27:28], v[6:9], off offset:8
.LBB6_117:                              ;   in Loop: Header=BB6_54 Depth=1
	s_or_b64 exec, exec, s[22:23]
	v_cmp_gt_u64_e64 vcc, s[12:13], 56
	v_or_b32_e32 v6, 0, v1
	v_cndmask_b32_e32 v1, v6, v1, vcc
	v_or_b32_e32 v6, v0, v29
	s_lshl_b32 s20, s14, 2
	s_lshl_b64 s[18:19], s[18:19], 12
	v_cndmask_b32_e32 v0, v6, v0, vcc
	s_add_i32 s20, s20, 28
	v_mov_b32_e32 v6, s19
	v_add_co_u32_e32 v24, vcc, s18, v24
	s_and_b32 s20, s20, 0x1e0
	v_and_b32_e32 v0, 0xffffff1f, v0
	v_addc_co_u32_e32 v30, vcc, v25, v6, vcc
	v_or_b32_e32 v0, s20, v0
	v_readfirstlane_b32 s18, v24
	v_readfirstlane_b32 s19, v30
	s_nop 4
	global_store_dwordx4 v31, v[0:3], s[18:19]
	global_store_dwordx4 v31, v[10:13], s[18:19] offset:16
	global_store_dwordx4 v31, v[14:17], s[18:19] offset:32
	;; [unrolled: 1-line block ×3, first 2 shown]
	s_and_saveexec_b64 s[18:19], s[4:5]
	s_cbranch_execz .LBB6_125
; %bb.118:                              ;   in Loop: Header=BB6_54 Depth=1
	global_load_dwordx2 v[12:13], v26, s[6:7] offset:32 glc
	global_load_dwordx2 v[0:1], v26, s[6:7] offset:40
	v_mov_b32_e32 v10, s16
	v_mov_b32_e32 v11, s17
	s_waitcnt vmcnt(0)
	v_readfirstlane_b32 s20, v0
	v_readfirstlane_b32 s21, v1
	s_and_b64 s[20:21], s[20:21], s[16:17]
	s_mul_i32 s21, s21, 24
	s_mul_hi_u32 s22, s20, 24
	s_mul_i32 s20, s20, 24
	s_add_i32 s21, s22, s21
	v_mov_b32_e32 v0, s21
	v_add_co_u32_e32 v6, vcc, s20, v22
	v_addc_co_u32_e32 v7, vcc, v23, v0, vcc
	global_store_dwordx2 v[6:7], v[12:13], off
	s_waitcnt vmcnt(0)
	global_atomic_cmpswap_x2 v[2:3], v26, v[10:13], s[6:7] offset:32 glc
	s_waitcnt vmcnt(0)
	v_cmp_ne_u64_e32 vcc, v[2:3], v[12:13]
	s_and_saveexec_b64 s[20:21], vcc
	s_cbranch_execz .LBB6_121
; %bb.119:                              ;   in Loop: Header=BB6_54 Depth=1
	s_mov_b64 s[22:23], 0
.LBB6_120:                              ;   Parent Loop BB6_54 Depth=1
                                        ; =>  This Inner Loop Header: Depth=2
	s_sleep 1
	global_store_dwordx2 v[6:7], v[2:3], off
	v_mov_b32_e32 v0, s16
	v_mov_b32_e32 v1, s17
	s_waitcnt vmcnt(0)
	global_atomic_cmpswap_x2 v[0:1], v26, v[0:3], s[6:7] offset:32 glc
	s_waitcnt vmcnt(0)
	v_cmp_eq_u64_e32 vcc, v[0:1], v[2:3]
	v_mov_b32_e32 v3, v1
	s_or_b64 s[22:23], vcc, s[22:23]
	v_mov_b32_e32 v2, v0
	s_andn2_b64 exec, exec, s[22:23]
	s_cbranch_execnz .LBB6_120
.LBB6_121:                              ;   in Loop: Header=BB6_54 Depth=1
	s_or_b64 exec, exec, s[20:21]
	global_load_dwordx2 v[0:1], v26, s[6:7] offset:16
	s_mov_b64 s[22:23], exec
	v_mbcnt_lo_u32_b32 v2, s22, 0
	v_mbcnt_hi_u32_b32 v2, s23, v2
	v_cmp_eq_u32_e32 vcc, 0, v2
	s_and_saveexec_b64 s[20:21], vcc
	s_cbranch_execz .LBB6_123
; %bb.122:                              ;   in Loop: Header=BB6_54 Depth=1
	s_bcnt1_i32_b64 s22, s[22:23]
	v_mov_b32_e32 v25, s22
	s_waitcnt vmcnt(0)
	global_atomic_add_x2 v[0:1], v[25:26], off offset:8
.LBB6_123:                              ;   in Loop: Header=BB6_54 Depth=1
	s_or_b64 exec, exec, s[20:21]
	s_waitcnt vmcnt(0)
	global_load_dwordx2 v[2:3], v[0:1], off offset:16
	s_waitcnt vmcnt(0)
	v_cmp_eq_u64_e32 vcc, 0, v[2:3]
	s_cbranch_vccnz .LBB6_125
; %bb.124:                              ;   in Loop: Header=BB6_54 Depth=1
	global_load_dword v25, v[0:1], off offset:24
	s_waitcnt vmcnt(0)
	v_and_b32_e32 v0, 0xffffff, v25
	v_readfirstlane_b32 m0, v0
	global_store_dwordx2 v[2:3], v[25:26], off
	s_sendmsg sendmsg(MSG_INTERRUPT)
.LBB6_125:                              ;   in Loop: Header=BB6_54 Depth=1
	s_or_b64 exec, exec, s[18:19]
	v_add_co_u32_e32 v0, vcc, v24, v31
	v_addc_co_u32_e32 v1, vcc, 0, v30, vcc
	s_branch .LBB6_129
.LBB6_126:                              ;   in Loop: Header=BB6_129 Depth=2
	s_or_b64 exec, exec, s[18:19]
	v_readfirstlane_b32 s18, v2
	s_cmp_eq_u32 s18, 0
	s_cbranch_scc1 .LBB6_128
; %bb.127:                              ;   in Loop: Header=BB6_129 Depth=2
	s_sleep 1
	s_cbranch_execnz .LBB6_129
	s_branch .LBB6_131
.LBB6_128:                              ;   in Loop: Header=BB6_54 Depth=1
	s_branch .LBB6_131
.LBB6_129:                              ;   Parent Loop BB6_54 Depth=1
                                        ; =>  This Inner Loop Header: Depth=2
	v_mov_b32_e32 v2, 1
	s_and_saveexec_b64 s[18:19], s[4:5]
	s_cbranch_execz .LBB6_126
; %bb.130:                              ;   in Loop: Header=BB6_129 Depth=2
	global_load_dword v2, v[27:28], off offset:20 glc
	s_waitcnt vmcnt(0)
	buffer_wbinvl1_vol
	v_and_b32_e32 v2, 1, v2
	s_branch .LBB6_126
.LBB6_131:                              ;   in Loop: Header=BB6_54 Depth=1
	global_load_dwordx4 v[0:3], v[0:1], off
	s_and_saveexec_b64 s[18:19], s[4:5]
	s_cbranch_execz .LBB6_53
; %bb.132:                              ;   in Loop: Header=BB6_54 Depth=1
	global_load_dwordx2 v[2:3], v26, s[6:7] offset:40
	global_load_dwordx2 v[6:7], v26, s[6:7] offset:24 glc
	global_load_dwordx2 v[13:14], v26, s[6:7]
	v_mov_b32_e32 v11, s17
	s_waitcnt vmcnt(2)
	v_add_co_u32_e32 v12, vcc, 1, v2
	v_addc_co_u32_e32 v15, vcc, 0, v3, vcc
	v_add_co_u32_e32 v10, vcc, s16, v12
	v_addc_co_u32_e32 v11, vcc, v15, v11, vcc
	v_cmp_eq_u64_e32 vcc, 0, v[10:11]
	v_cndmask_b32_e32 v11, v11, v15, vcc
	v_cndmask_b32_e32 v10, v10, v12, vcc
	v_and_b32_e32 v3, v11, v3
	v_and_b32_e32 v2, v10, v2
	v_mul_lo_u32 v3, v3, 24
	v_mul_hi_u32 v15, v2, 24
	v_mul_lo_u32 v2, v2, 24
	s_waitcnt vmcnt(1)
	v_mov_b32_e32 v12, v6
	v_add_u32_e32 v3, v15, v3
	s_waitcnt vmcnt(0)
	v_add_co_u32_e32 v2, vcc, v13, v2
	v_addc_co_u32_e32 v3, vcc, v14, v3, vcc
	global_store_dwordx2 v[2:3], v[6:7], off
	v_mov_b32_e32 v13, v7
	s_waitcnt vmcnt(0)
	global_atomic_cmpswap_x2 v[12:13], v26, v[10:13], s[6:7] offset:24 glc
	s_waitcnt vmcnt(0)
	v_cmp_ne_u64_e32 vcc, v[12:13], v[6:7]
	s_and_b64 exec, exec, vcc
	s_cbranch_execz .LBB6_53
; %bb.133:                              ;   in Loop: Header=BB6_54 Depth=1
	s_mov_b64 s[4:5], 0
.LBB6_134:                              ;   Parent Loop BB6_54 Depth=1
                                        ; =>  This Inner Loop Header: Depth=2
	s_sleep 1
	global_store_dwordx2 v[2:3], v[12:13], off
	s_waitcnt vmcnt(0)
	global_atomic_cmpswap_x2 v[6:7], v26, v[10:13], s[6:7] offset:24 glc
	s_waitcnt vmcnt(0)
	v_cmp_eq_u64_e32 vcc, v[6:7], v[12:13]
	v_mov_b32_e32 v13, v7
	s_or_b64 s[4:5], vcc, s[4:5]
	v_mov_b32_e32 v12, v6
	s_andn2_b64 exec, exec, s[4:5]
	s_cbranch_execnz .LBB6_134
	s_branch .LBB6_53
.LBB6_135:
	s_branch .LBB6_163
.LBB6_136:
                                        ; implicit-def: $vgpr0_vgpr1
	s_cbranch_execz .LBB6_163
; %bb.137:
	v_readfirstlane_b32 s4, v32
	v_mov_b32_e32 v7, 0
	v_mov_b32_e32 v8, 0
	v_cmp_eq_u32_e64 s[4:5], s4, v32
	s_and_saveexec_b64 s[10:11], s[4:5]
	s_cbranch_execz .LBB6_143
; %bb.138:
	s_waitcnt vmcnt(0)
	v_mov_b32_e32 v0, 0
	global_load_dwordx2 v[9:10], v0, s[6:7] offset:24 glc
	s_waitcnt vmcnt(0)
	buffer_wbinvl1_vol
	global_load_dwordx2 v[1:2], v0, s[6:7] offset:40
	global_load_dwordx2 v[6:7], v0, s[6:7]
	s_waitcnt vmcnt(1)
	v_and_b32_e32 v1, v1, v9
	v_and_b32_e32 v2, v2, v10
	v_mul_lo_u32 v2, v2, 24
	v_mul_hi_u32 v3, v1, 24
	v_mul_lo_u32 v1, v1, 24
	v_add_u32_e32 v2, v3, v2
	s_waitcnt vmcnt(0)
	v_add_co_u32_e32 v1, vcc, v6, v1
	v_addc_co_u32_e32 v2, vcc, v7, v2, vcc
	global_load_dwordx2 v[7:8], v[1:2], off glc
	s_waitcnt vmcnt(0)
	global_atomic_cmpswap_x2 v[7:8], v0, v[7:10], s[6:7] offset:24 glc
	s_waitcnt vmcnt(0)
	buffer_wbinvl1_vol
	v_cmp_ne_u64_e32 vcc, v[7:8], v[9:10]
	s_and_saveexec_b64 s[12:13], vcc
	s_cbranch_execz .LBB6_142
; %bb.139:
	s_mov_b64 s[14:15], 0
.LBB6_140:                              ; =>This Inner Loop Header: Depth=1
	s_sleep 1
	global_load_dwordx2 v[1:2], v0, s[6:7] offset:40
	global_load_dwordx2 v[11:12], v0, s[6:7]
	v_mov_b32_e32 v10, v8
	v_mov_b32_e32 v9, v7
	s_waitcnt vmcnt(1)
	v_and_b32_e32 v1, v1, v9
	s_waitcnt vmcnt(0)
	v_mad_u64_u32 v[6:7], s[16:17], v1, 24, v[11:12]
	v_and_b32_e32 v2, v2, v10
	v_mov_b32_e32 v1, v7
	v_mad_u64_u32 v[1:2], s[16:17], v2, 24, v[1:2]
	v_mov_b32_e32 v7, v1
	global_load_dwordx2 v[7:8], v[6:7], off glc
	s_waitcnt vmcnt(0)
	global_atomic_cmpswap_x2 v[7:8], v0, v[7:10], s[6:7] offset:24 glc
	s_waitcnt vmcnt(0)
	buffer_wbinvl1_vol
	v_cmp_eq_u64_e32 vcc, v[7:8], v[9:10]
	s_or_b64 s[14:15], vcc, s[14:15]
	s_andn2_b64 exec, exec, s[14:15]
	s_cbranch_execnz .LBB6_140
; %bb.141:
	s_or_b64 exec, exec, s[14:15]
.LBB6_142:
	s_or_b64 exec, exec, s[12:13]
.LBB6_143:
	s_or_b64 exec, exec, s[10:11]
	v_mov_b32_e32 v6, 0
	global_load_dwordx2 v[9:10], v6, s[6:7] offset:40
	global_load_dwordx4 v[0:3], v6, s[6:7]
	v_readfirstlane_b32 s10, v7
	v_readfirstlane_b32 s11, v8
	s_mov_b64 s[12:13], exec
	s_waitcnt vmcnt(1)
	v_readfirstlane_b32 s14, v9
	v_readfirstlane_b32 s15, v10
	s_and_b64 s[14:15], s[10:11], s[14:15]
	s_mul_i32 s16, s15, 24
	s_mul_hi_u32 s17, s14, 24
	s_mul_i32 s18, s14, 24
	s_add_i32 s16, s17, s16
	v_mov_b32_e32 v7, s16
	s_waitcnt vmcnt(0)
	v_add_co_u32_e32 v8, vcc, s18, v0
	v_addc_co_u32_e32 v9, vcc, v1, v7, vcc
	s_and_saveexec_b64 s[16:17], s[4:5]
	s_cbranch_execz .LBB6_145
; %bb.144:
	v_mov_b32_e32 v10, s12
	v_mov_b32_e32 v11, s13
	;; [unrolled: 1-line block ×4, first 2 shown]
	global_store_dwordx4 v[8:9], v[10:13], off offset:8
.LBB6_145:
	s_or_b64 exec, exec, s[16:17]
	s_lshl_b64 s[12:13], s[14:15], 12
	v_mov_b32_e32 v7, s13
	v_add_co_u32_e32 v2, vcc, s12, v2
	v_addc_co_u32_e32 v3, vcc, v3, v7, vcc
	s_movk_i32 s12, 0xff1f
	v_and_or_b32 v4, v4, s12, 32
	v_add_co_u32_e32 v10, vcc, v2, v31
	s_mov_b32 s12, 0
	v_mov_b32_e32 v7, v6
	v_readfirstlane_b32 s16, v2
	v_readfirstlane_b32 s17, v3
	v_addc_co_u32_e32 v11, vcc, 0, v3, vcc
	s_mov_b32 s13, s12
	s_mov_b32 s14, s12
	;; [unrolled: 1-line block ×3, first 2 shown]
	s_nop 0
	global_store_dwordx4 v31, v[4:7], s[16:17]
	v_mov_b32_e32 v2, s12
	v_mov_b32_e32 v3, s13
	;; [unrolled: 1-line block ×4, first 2 shown]
	global_store_dwordx4 v31, v[2:5], s[16:17] offset:16
	global_store_dwordx4 v31, v[2:5], s[16:17] offset:32
	;; [unrolled: 1-line block ×3, first 2 shown]
	s_and_saveexec_b64 s[12:13], s[4:5]
	s_cbranch_execz .LBB6_153
; %bb.146:
	v_mov_b32_e32 v6, 0
	global_load_dwordx2 v[14:15], v6, s[6:7] offset:32 glc
	global_load_dwordx2 v[2:3], v6, s[6:7] offset:40
	v_mov_b32_e32 v12, s10
	v_mov_b32_e32 v13, s11
	s_waitcnt vmcnt(0)
	v_readfirstlane_b32 s14, v2
	v_readfirstlane_b32 s15, v3
	s_and_b64 s[14:15], s[14:15], s[10:11]
	s_mul_i32 s15, s15, 24
	s_mul_hi_u32 s16, s14, 24
	s_mul_i32 s14, s14, 24
	s_add_i32 s15, s16, s15
	v_mov_b32_e32 v2, s15
	v_add_co_u32_e32 v4, vcc, s14, v0
	v_addc_co_u32_e32 v5, vcc, v1, v2, vcc
	global_store_dwordx2 v[4:5], v[14:15], off
	s_waitcnt vmcnt(0)
	global_atomic_cmpswap_x2 v[2:3], v6, v[12:15], s[6:7] offset:32 glc
	s_waitcnt vmcnt(0)
	v_cmp_ne_u64_e32 vcc, v[2:3], v[14:15]
	s_and_saveexec_b64 s[14:15], vcc
	s_cbranch_execz .LBB6_149
; %bb.147:
	s_mov_b64 s[16:17], 0
.LBB6_148:                              ; =>This Inner Loop Header: Depth=1
	s_sleep 1
	global_store_dwordx2 v[4:5], v[2:3], off
	v_mov_b32_e32 v0, s10
	v_mov_b32_e32 v1, s11
	s_waitcnt vmcnt(0)
	global_atomic_cmpswap_x2 v[0:1], v6, v[0:3], s[6:7] offset:32 glc
	s_waitcnt vmcnt(0)
	v_cmp_eq_u64_e32 vcc, v[0:1], v[2:3]
	v_mov_b32_e32 v3, v1
	s_or_b64 s[16:17], vcc, s[16:17]
	v_mov_b32_e32 v2, v0
	s_andn2_b64 exec, exec, s[16:17]
	s_cbranch_execnz .LBB6_148
.LBB6_149:
	s_or_b64 exec, exec, s[14:15]
	v_mov_b32_e32 v3, 0
	global_load_dwordx2 v[0:1], v3, s[6:7] offset:16
	s_mov_b64 s[14:15], exec
	v_mbcnt_lo_u32_b32 v2, s14, 0
	v_mbcnt_hi_u32_b32 v2, s15, v2
	v_cmp_eq_u32_e32 vcc, 0, v2
	s_and_saveexec_b64 s[16:17], vcc
	s_cbranch_execz .LBB6_151
; %bb.150:
	s_bcnt1_i32_b64 s14, s[14:15]
	v_mov_b32_e32 v2, s14
	s_waitcnt vmcnt(0)
	global_atomic_add_x2 v[0:1], v[2:3], off offset:8
.LBB6_151:
	s_or_b64 exec, exec, s[16:17]
	s_waitcnt vmcnt(0)
	global_load_dwordx2 v[2:3], v[0:1], off offset:16
	s_waitcnt vmcnt(0)
	v_cmp_eq_u64_e32 vcc, 0, v[2:3]
	s_cbranch_vccnz .LBB6_153
; %bb.152:
	global_load_dword v0, v[0:1], off offset:24
	v_mov_b32_e32 v1, 0
	s_waitcnt vmcnt(0)
	global_store_dwordx2 v[2:3], v[0:1], off
	v_and_b32_e32 v0, 0xffffff, v0
	v_readfirstlane_b32 m0, v0
	s_sendmsg sendmsg(MSG_INTERRUPT)
.LBB6_153:
	s_or_b64 exec, exec, s[12:13]
	s_branch .LBB6_157
.LBB6_154:                              ;   in Loop: Header=BB6_157 Depth=1
	s_or_b64 exec, exec, s[12:13]
	v_readfirstlane_b32 s12, v0
	s_cmp_eq_u32 s12, 0
	s_cbranch_scc1 .LBB6_156
; %bb.155:                              ;   in Loop: Header=BB6_157 Depth=1
	s_sleep 1
	s_cbranch_execnz .LBB6_157
	s_branch .LBB6_159
.LBB6_156:
	s_branch .LBB6_159
.LBB6_157:                              ; =>This Inner Loop Header: Depth=1
	v_mov_b32_e32 v0, 1
	s_and_saveexec_b64 s[12:13], s[4:5]
	s_cbranch_execz .LBB6_154
; %bb.158:                              ;   in Loop: Header=BB6_157 Depth=1
	global_load_dword v0, v[8:9], off offset:20 glc
	s_waitcnt vmcnt(0)
	buffer_wbinvl1_vol
	v_and_b32_e32 v0, 1, v0
	s_branch .LBB6_154
.LBB6_159:
	global_load_dwordx2 v[0:1], v[10:11], off
	s_and_saveexec_b64 s[12:13], s[4:5]
	s_cbranch_execz .LBB6_162
; %bb.160:
	v_mov_b32_e32 v8, 0
	global_load_dwordx2 v[4:5], v8, s[6:7] offset:40
	global_load_dwordx2 v[9:10], v8, s[6:7] offset:24 glc
	global_load_dwordx2 v[6:7], v8, s[6:7]
	v_mov_b32_e32 v3, s11
	s_mov_b64 s[4:5], 0
	s_waitcnt vmcnt(2)
	v_add_co_u32_e32 v11, vcc, 1, v4
	v_addc_co_u32_e32 v12, vcc, 0, v5, vcc
	v_add_co_u32_e32 v2, vcc, s10, v11
	v_addc_co_u32_e32 v3, vcc, v12, v3, vcc
	v_cmp_eq_u64_e32 vcc, 0, v[2:3]
	v_cndmask_b32_e32 v3, v3, v12, vcc
	v_cndmask_b32_e32 v2, v2, v11, vcc
	v_and_b32_e32 v5, v3, v5
	v_and_b32_e32 v4, v2, v4
	v_mul_lo_u32 v5, v5, 24
	v_mul_hi_u32 v11, v4, 24
	v_mul_lo_u32 v12, v4, 24
	s_waitcnt vmcnt(1)
	v_mov_b32_e32 v4, v9
	v_add_u32_e32 v5, v11, v5
	s_waitcnt vmcnt(0)
	v_add_co_u32_e32 v6, vcc, v6, v12
	v_addc_co_u32_e32 v7, vcc, v7, v5, vcc
	global_store_dwordx2 v[6:7], v[9:10], off
	v_mov_b32_e32 v5, v10
	s_waitcnt vmcnt(0)
	global_atomic_cmpswap_x2 v[4:5], v8, v[2:5], s[6:7] offset:24 glc
	s_waitcnt vmcnt(0)
	v_cmp_ne_u64_e32 vcc, v[4:5], v[9:10]
	s_and_b64 exec, exec, vcc
	s_cbranch_execz .LBB6_162
.LBB6_161:                              ; =>This Inner Loop Header: Depth=1
	s_sleep 1
	global_store_dwordx2 v[6:7], v[4:5], off
	s_waitcnt vmcnt(0)
	global_atomic_cmpswap_x2 v[9:10], v8, v[2:5], s[6:7] offset:24 glc
	s_waitcnt vmcnt(0)
	v_cmp_eq_u64_e32 vcc, v[9:10], v[4:5]
	v_mov_b32_e32 v4, v9
	s_or_b64 s[4:5], vcc, s[4:5]
	v_mov_b32_e32 v5, v10
	s_andn2_b64 exec, exec, s[4:5]
	s_cbranch_execnz .LBB6_161
.LBB6_162:
	s_or_b64 exec, exec, s[12:13]
.LBB6_163:
	s_getpc_b64 s[10:11]
	s_add_u32 s10, s10, __PRETTY_FUNCTION__._ZL24merge_overlapping_rangesRN8migraphx4test12test_managerE@rel32@lo+4
	s_addc_u32 s11, s11, __PRETTY_FUNCTION__._ZL24merge_overlapping_rangesRN8migraphx4test12test_managerE@rel32@hi+12
	s_cmp_lg_u64 s[10:11], 0
	s_cbranch_scc0 .LBB6_248
; %bb.164:
	s_waitcnt vmcnt(0)
	v_and_b32_e32 v6, -3, v0
	v_mov_b32_e32 v7, v1
	s_mov_b64 s[12:13], 62
	v_mov_b32_e32 v26, 0
	v_mov_b32_e32 v4, 2
	;; [unrolled: 1-line block ×3, first 2 shown]
	s_branch .LBB6_166
.LBB6_165:                              ;   in Loop: Header=BB6_166 Depth=1
	s_or_b64 exec, exec, s[18:19]
	s_sub_u32 s12, s12, s14
	s_subb_u32 s13, s13, s15
	s_add_u32 s10, s10, s14
	s_addc_u32 s11, s11, s15
	s_cmp_lg_u64 s[12:13], 0
	s_cbranch_scc0 .LBB6_247
.LBB6_166:                              ; =>This Loop Header: Depth=1
                                        ;     Child Loop BB6_169 Depth 2
                                        ;     Child Loop BB6_176 Depth 2
	;; [unrolled: 1-line block ×11, first 2 shown]
	v_cmp_lt_u64_e64 s[4:5], s[12:13], 56
	v_cmp_gt_u64_e64 s[16:17], s[12:13], 7
	s_and_b64 s[4:5], s[4:5], exec
	s_cselect_b32 s15, s13, 0
	s_cselect_b32 s14, s12, 56
	s_and_b64 vcc, exec, s[16:17]
	s_cbranch_vccnz .LBB6_171
; %bb.167:                              ;   in Loop: Header=BB6_166 Depth=1
	s_waitcnt vmcnt(0)
	v_mov_b32_e32 v8, 0
	s_cmp_eq_u64 s[12:13], 0
	v_mov_b32_e32 v9, 0
	s_mov_b64 s[4:5], 0
	s_cbranch_scc1 .LBB6_170
; %bb.168:                              ;   in Loop: Header=BB6_166 Depth=1
	v_mov_b32_e32 v8, 0
	s_lshl_b64 s[16:17], s[14:15], 3
	s_mov_b64 s[18:19], 0
	v_mov_b32_e32 v9, 0
	s_mov_b64 s[20:21], s[10:11]
.LBB6_169:                              ;   Parent Loop BB6_166 Depth=1
                                        ; =>  This Inner Loop Header: Depth=2
	global_load_ubyte v2, v26, s[20:21]
	s_waitcnt vmcnt(0)
	v_and_b32_e32 v25, 0xffff, v2
	v_lshlrev_b64 v[2:3], s18, v[25:26]
	s_add_u32 s18, s18, 8
	s_addc_u32 s19, s19, 0
	s_add_u32 s20, s20, 1
	s_addc_u32 s21, s21, 0
	v_or_b32_e32 v8, v2, v8
	s_cmp_lg_u32 s16, s18
	v_or_b32_e32 v9, v3, v9
	s_cbranch_scc1 .LBB6_169
.LBB6_170:                              ;   in Loop: Header=BB6_166 Depth=1
	s_mov_b32 s20, 0
	s_andn2_b64 vcc, exec, s[4:5]
	s_mov_b64 s[4:5], s[10:11]
	s_cbranch_vccz .LBB6_172
	s_branch .LBB6_173
.LBB6_171:                              ;   in Loop: Header=BB6_166 Depth=1
                                        ; implicit-def: $sgpr20
	s_mov_b64 s[4:5], s[10:11]
.LBB6_172:                              ;   in Loop: Header=BB6_166 Depth=1
	global_load_dwordx2 v[8:9], v26, s[10:11]
	s_add_i32 s20, s14, -8
	s_add_u32 s4, s10, 8
	s_addc_u32 s5, s11, 0
.LBB6_173:                              ;   in Loop: Header=BB6_166 Depth=1
	s_cmp_gt_u32 s20, 7
	s_cbranch_scc1 .LBB6_177
; %bb.174:                              ;   in Loop: Header=BB6_166 Depth=1
	s_cmp_eq_u32 s20, 0
	s_cbranch_scc1 .LBB6_178
; %bb.175:                              ;   in Loop: Header=BB6_166 Depth=1
	v_mov_b32_e32 v10, 0
	s_mov_b64 s[16:17], 0
	v_mov_b32_e32 v11, 0
	s_mov_b64 s[18:19], 0
.LBB6_176:                              ;   Parent Loop BB6_166 Depth=1
                                        ; =>  This Inner Loop Header: Depth=2
	s_add_u32 s22, s4, s18
	s_addc_u32 s23, s5, s19
	global_load_ubyte v2, v26, s[22:23]
	s_add_u32 s18, s18, 1
	s_addc_u32 s19, s19, 0
	s_waitcnt vmcnt(0)
	v_and_b32_e32 v25, 0xffff, v2
	v_lshlrev_b64 v[2:3], s16, v[25:26]
	s_add_u32 s16, s16, 8
	s_addc_u32 s17, s17, 0
	v_or_b32_e32 v10, v2, v10
	s_cmp_lg_u32 s20, s18
	v_or_b32_e32 v11, v3, v11
	s_cbranch_scc1 .LBB6_176
	s_branch .LBB6_179
.LBB6_177:                              ;   in Loop: Header=BB6_166 Depth=1
                                        ; implicit-def: $vgpr10_vgpr11
                                        ; implicit-def: $sgpr21
	s_branch .LBB6_180
.LBB6_178:                              ;   in Loop: Header=BB6_166 Depth=1
	v_mov_b32_e32 v10, 0
	v_mov_b32_e32 v11, 0
.LBB6_179:                              ;   in Loop: Header=BB6_166 Depth=1
	s_mov_b32 s21, 0
	s_cbranch_execnz .LBB6_181
.LBB6_180:                              ;   in Loop: Header=BB6_166 Depth=1
	global_load_dwordx2 v[10:11], v26, s[4:5]
	s_add_i32 s21, s20, -8
	s_add_u32 s4, s4, 8
	s_addc_u32 s5, s5, 0
.LBB6_181:                              ;   in Loop: Header=BB6_166 Depth=1
	s_cmp_gt_u32 s21, 7
	s_cbranch_scc1 .LBB6_185
; %bb.182:                              ;   in Loop: Header=BB6_166 Depth=1
	s_cmp_eq_u32 s21, 0
	s_cbranch_scc1 .LBB6_186
; %bb.183:                              ;   in Loop: Header=BB6_166 Depth=1
	v_mov_b32_e32 v12, 0
	s_mov_b64 s[16:17], 0
	v_mov_b32_e32 v13, 0
	s_mov_b64 s[18:19], 0
.LBB6_184:                              ;   Parent Loop BB6_166 Depth=1
                                        ; =>  This Inner Loop Header: Depth=2
	s_add_u32 s22, s4, s18
	s_addc_u32 s23, s5, s19
	global_load_ubyte v2, v26, s[22:23]
	s_add_u32 s18, s18, 1
	s_addc_u32 s19, s19, 0
	s_waitcnt vmcnt(0)
	v_and_b32_e32 v25, 0xffff, v2
	v_lshlrev_b64 v[2:3], s16, v[25:26]
	s_add_u32 s16, s16, 8
	s_addc_u32 s17, s17, 0
	v_or_b32_e32 v12, v2, v12
	s_cmp_lg_u32 s21, s18
	v_or_b32_e32 v13, v3, v13
	s_cbranch_scc1 .LBB6_184
	s_branch .LBB6_187
.LBB6_185:                              ;   in Loop: Header=BB6_166 Depth=1
                                        ; implicit-def: $sgpr20
	s_branch .LBB6_188
.LBB6_186:                              ;   in Loop: Header=BB6_166 Depth=1
	v_mov_b32_e32 v12, 0
	v_mov_b32_e32 v13, 0
.LBB6_187:                              ;   in Loop: Header=BB6_166 Depth=1
	s_mov_b32 s20, 0
	s_cbranch_execnz .LBB6_189
.LBB6_188:                              ;   in Loop: Header=BB6_166 Depth=1
	global_load_dwordx2 v[12:13], v26, s[4:5]
	s_add_i32 s20, s21, -8
	s_add_u32 s4, s4, 8
	s_addc_u32 s5, s5, 0
.LBB6_189:                              ;   in Loop: Header=BB6_166 Depth=1
	s_cmp_gt_u32 s20, 7
	s_cbranch_scc1 .LBB6_193
; %bb.190:                              ;   in Loop: Header=BB6_166 Depth=1
	s_cmp_eq_u32 s20, 0
	s_cbranch_scc1 .LBB6_194
; %bb.191:                              ;   in Loop: Header=BB6_166 Depth=1
	v_mov_b32_e32 v14, 0
	s_mov_b64 s[16:17], 0
	v_mov_b32_e32 v15, 0
	s_mov_b64 s[18:19], 0
.LBB6_192:                              ;   Parent Loop BB6_166 Depth=1
                                        ; =>  This Inner Loop Header: Depth=2
	s_add_u32 s22, s4, s18
	s_addc_u32 s23, s5, s19
	global_load_ubyte v2, v26, s[22:23]
	s_add_u32 s18, s18, 1
	s_addc_u32 s19, s19, 0
	s_waitcnt vmcnt(0)
	v_and_b32_e32 v25, 0xffff, v2
	v_lshlrev_b64 v[2:3], s16, v[25:26]
	s_add_u32 s16, s16, 8
	s_addc_u32 s17, s17, 0
	v_or_b32_e32 v14, v2, v14
	s_cmp_lg_u32 s20, s18
	v_or_b32_e32 v15, v3, v15
	s_cbranch_scc1 .LBB6_192
	s_branch .LBB6_195
.LBB6_193:                              ;   in Loop: Header=BB6_166 Depth=1
                                        ; implicit-def: $vgpr14_vgpr15
                                        ; implicit-def: $sgpr21
	s_branch .LBB6_196
.LBB6_194:                              ;   in Loop: Header=BB6_166 Depth=1
	v_mov_b32_e32 v14, 0
	v_mov_b32_e32 v15, 0
.LBB6_195:                              ;   in Loop: Header=BB6_166 Depth=1
	s_mov_b32 s21, 0
	s_cbranch_execnz .LBB6_197
.LBB6_196:                              ;   in Loop: Header=BB6_166 Depth=1
	global_load_dwordx2 v[14:15], v26, s[4:5]
	s_add_i32 s21, s20, -8
	s_add_u32 s4, s4, 8
	s_addc_u32 s5, s5, 0
.LBB6_197:                              ;   in Loop: Header=BB6_166 Depth=1
	s_cmp_gt_u32 s21, 7
	s_cbranch_scc1 .LBB6_201
; %bb.198:                              ;   in Loop: Header=BB6_166 Depth=1
	s_cmp_eq_u32 s21, 0
	s_cbranch_scc1 .LBB6_202
; %bb.199:                              ;   in Loop: Header=BB6_166 Depth=1
	v_mov_b32_e32 v16, 0
	s_mov_b64 s[16:17], 0
	v_mov_b32_e32 v17, 0
	s_mov_b64 s[18:19], 0
.LBB6_200:                              ;   Parent Loop BB6_166 Depth=1
                                        ; =>  This Inner Loop Header: Depth=2
	s_add_u32 s22, s4, s18
	s_addc_u32 s23, s5, s19
	global_load_ubyte v2, v26, s[22:23]
	s_add_u32 s18, s18, 1
	s_addc_u32 s19, s19, 0
	s_waitcnt vmcnt(0)
	v_and_b32_e32 v25, 0xffff, v2
	v_lshlrev_b64 v[2:3], s16, v[25:26]
	s_add_u32 s16, s16, 8
	s_addc_u32 s17, s17, 0
	v_or_b32_e32 v16, v2, v16
	s_cmp_lg_u32 s21, s18
	v_or_b32_e32 v17, v3, v17
	s_cbranch_scc1 .LBB6_200
	s_branch .LBB6_203
.LBB6_201:                              ;   in Loop: Header=BB6_166 Depth=1
                                        ; implicit-def: $sgpr20
	s_branch .LBB6_204
.LBB6_202:                              ;   in Loop: Header=BB6_166 Depth=1
	v_mov_b32_e32 v16, 0
	v_mov_b32_e32 v17, 0
.LBB6_203:                              ;   in Loop: Header=BB6_166 Depth=1
	s_mov_b32 s20, 0
	s_cbranch_execnz .LBB6_205
.LBB6_204:                              ;   in Loop: Header=BB6_166 Depth=1
	global_load_dwordx2 v[16:17], v26, s[4:5]
	s_add_i32 s20, s21, -8
	s_add_u32 s4, s4, 8
	s_addc_u32 s5, s5, 0
.LBB6_205:                              ;   in Loop: Header=BB6_166 Depth=1
	s_cmp_gt_u32 s20, 7
	s_cbranch_scc1 .LBB6_209
; %bb.206:                              ;   in Loop: Header=BB6_166 Depth=1
	s_cmp_eq_u32 s20, 0
	s_cbranch_scc1 .LBB6_210
; %bb.207:                              ;   in Loop: Header=BB6_166 Depth=1
	v_mov_b32_e32 v18, 0
	s_mov_b64 s[16:17], 0
	v_mov_b32_e32 v19, 0
	s_mov_b64 s[18:19], 0
.LBB6_208:                              ;   Parent Loop BB6_166 Depth=1
                                        ; =>  This Inner Loop Header: Depth=2
	s_add_u32 s22, s4, s18
	s_addc_u32 s23, s5, s19
	global_load_ubyte v2, v26, s[22:23]
	s_add_u32 s18, s18, 1
	s_addc_u32 s19, s19, 0
	s_waitcnt vmcnt(0)
	v_and_b32_e32 v25, 0xffff, v2
	v_lshlrev_b64 v[2:3], s16, v[25:26]
	s_add_u32 s16, s16, 8
	s_addc_u32 s17, s17, 0
	v_or_b32_e32 v18, v2, v18
	s_cmp_lg_u32 s20, s18
	v_or_b32_e32 v19, v3, v19
	s_cbranch_scc1 .LBB6_208
	s_branch .LBB6_211
.LBB6_209:                              ;   in Loop: Header=BB6_166 Depth=1
                                        ; implicit-def: $vgpr18_vgpr19
                                        ; implicit-def: $sgpr21
	s_branch .LBB6_212
.LBB6_210:                              ;   in Loop: Header=BB6_166 Depth=1
	v_mov_b32_e32 v18, 0
	v_mov_b32_e32 v19, 0
.LBB6_211:                              ;   in Loop: Header=BB6_166 Depth=1
	s_mov_b32 s21, 0
	s_cbranch_execnz .LBB6_213
.LBB6_212:                              ;   in Loop: Header=BB6_166 Depth=1
	global_load_dwordx2 v[18:19], v26, s[4:5]
	s_add_i32 s21, s20, -8
	s_add_u32 s4, s4, 8
	s_addc_u32 s5, s5, 0
.LBB6_213:                              ;   in Loop: Header=BB6_166 Depth=1
	s_cmp_gt_u32 s21, 7
	s_cbranch_scc1 .LBB6_217
; %bb.214:                              ;   in Loop: Header=BB6_166 Depth=1
	s_cmp_eq_u32 s21, 0
	s_cbranch_scc1 .LBB6_218
; %bb.215:                              ;   in Loop: Header=BB6_166 Depth=1
	v_mov_b32_e32 v20, 0
	s_mov_b64 s[16:17], 0
	v_mov_b32_e32 v21, 0
	s_mov_b64 s[18:19], s[4:5]
.LBB6_216:                              ;   Parent Loop BB6_166 Depth=1
                                        ; =>  This Inner Loop Header: Depth=2
	global_load_ubyte v2, v26, s[18:19]
	s_add_i32 s21, s21, -1
	s_waitcnt vmcnt(0)
	v_and_b32_e32 v25, 0xffff, v2
	v_lshlrev_b64 v[2:3], s16, v[25:26]
	s_add_u32 s16, s16, 8
	s_addc_u32 s17, s17, 0
	s_add_u32 s18, s18, 1
	s_addc_u32 s19, s19, 0
	v_or_b32_e32 v20, v2, v20
	s_cmp_lg_u32 s21, 0
	v_or_b32_e32 v21, v3, v21
	s_cbranch_scc1 .LBB6_216
	s_branch .LBB6_219
.LBB6_217:                              ;   in Loop: Header=BB6_166 Depth=1
	s_branch .LBB6_220
.LBB6_218:                              ;   in Loop: Header=BB6_166 Depth=1
	v_mov_b32_e32 v20, 0
	v_mov_b32_e32 v21, 0
.LBB6_219:                              ;   in Loop: Header=BB6_166 Depth=1
	s_cbranch_execnz .LBB6_221
.LBB6_220:                              ;   in Loop: Header=BB6_166 Depth=1
	global_load_dwordx2 v[20:21], v26, s[4:5]
.LBB6_221:                              ;   in Loop: Header=BB6_166 Depth=1
	v_readfirstlane_b32 s4, v32
	v_mov_b32_e32 v2, 0
	v_mov_b32_e32 v3, 0
	v_cmp_eq_u32_e64 s[4:5], s4, v32
	s_and_saveexec_b64 s[16:17], s[4:5]
	s_cbranch_execz .LBB6_227
; %bb.222:                              ;   in Loop: Header=BB6_166 Depth=1
	global_load_dwordx2 v[24:25], v26, s[6:7] offset:24 glc
	s_waitcnt vmcnt(0)
	buffer_wbinvl1_vol
	global_load_dwordx2 v[2:3], v26, s[6:7] offset:40
	global_load_dwordx2 v[22:23], v26, s[6:7]
	s_waitcnt vmcnt(1)
	v_and_b32_e32 v2, v2, v24
	v_and_b32_e32 v3, v3, v25
	v_mul_lo_u32 v3, v3, 24
	v_mul_hi_u32 v27, v2, 24
	v_mul_lo_u32 v2, v2, 24
	v_add_u32_e32 v3, v27, v3
	s_waitcnt vmcnt(0)
	v_add_co_u32_e32 v2, vcc, v22, v2
	v_addc_co_u32_e32 v3, vcc, v23, v3, vcc
	global_load_dwordx2 v[22:23], v[2:3], off glc
	s_waitcnt vmcnt(0)
	global_atomic_cmpswap_x2 v[2:3], v26, v[22:25], s[6:7] offset:24 glc
	s_waitcnt vmcnt(0)
	buffer_wbinvl1_vol
	v_cmp_ne_u64_e32 vcc, v[2:3], v[24:25]
	s_and_saveexec_b64 s[18:19], vcc
	s_cbranch_execz .LBB6_226
; %bb.223:                              ;   in Loop: Header=BB6_166 Depth=1
	s_mov_b64 s[20:21], 0
.LBB6_224:                              ;   Parent Loop BB6_166 Depth=1
                                        ; =>  This Inner Loop Header: Depth=2
	s_sleep 1
	global_load_dwordx2 v[22:23], v26, s[6:7] offset:40
	global_load_dwordx2 v[27:28], v26, s[6:7]
	v_mov_b32_e32 v25, v3
	v_mov_b32_e32 v24, v2
	s_waitcnt vmcnt(1)
	v_and_b32_e32 v2, v22, v24
	s_waitcnt vmcnt(0)
	v_mad_u64_u32 v[2:3], s[22:23], v2, 24, v[27:28]
	v_and_b32_e32 v22, v23, v25
	v_mad_u64_u32 v[22:23], s[22:23], v22, 24, v[3:4]
	v_mov_b32_e32 v3, v22
	global_load_dwordx2 v[22:23], v[2:3], off glc
	s_waitcnt vmcnt(0)
	global_atomic_cmpswap_x2 v[2:3], v26, v[22:25], s[6:7] offset:24 glc
	s_waitcnt vmcnt(0)
	buffer_wbinvl1_vol
	v_cmp_eq_u64_e32 vcc, v[2:3], v[24:25]
	s_or_b64 s[20:21], vcc, s[20:21]
	s_andn2_b64 exec, exec, s[20:21]
	s_cbranch_execnz .LBB6_224
; %bb.225:                              ;   in Loop: Header=BB6_166 Depth=1
	s_or_b64 exec, exec, s[20:21]
.LBB6_226:                              ;   in Loop: Header=BB6_166 Depth=1
	s_or_b64 exec, exec, s[18:19]
.LBB6_227:                              ;   in Loop: Header=BB6_166 Depth=1
	s_or_b64 exec, exec, s[16:17]
	global_load_dwordx2 v[27:28], v26, s[6:7] offset:40
	global_load_dwordx4 v[22:25], v26, s[6:7]
	v_readfirstlane_b32 s16, v2
	v_readfirstlane_b32 s17, v3
	s_mov_b64 s[18:19], exec
	s_waitcnt vmcnt(1)
	v_readfirstlane_b32 s20, v27
	v_readfirstlane_b32 s21, v28
	s_and_b64 s[20:21], s[16:17], s[20:21]
	s_mul_i32 s22, s21, 24
	s_mul_hi_u32 s23, s20, 24
	s_mul_i32 s24, s20, 24
	s_add_i32 s22, s23, s22
	v_mov_b32_e32 v2, s22
	s_waitcnt vmcnt(0)
	v_add_co_u32_e32 v27, vcc, s24, v22
	v_addc_co_u32_e32 v28, vcc, v23, v2, vcc
	s_and_saveexec_b64 s[22:23], s[4:5]
	s_cbranch_execz .LBB6_229
; %bb.228:                              ;   in Loop: Header=BB6_166 Depth=1
	v_mov_b32_e32 v2, s18
	v_mov_b32_e32 v3, s19
	global_store_dwordx4 v[27:28], v[2:5], off offset:8
.LBB6_229:                              ;   in Loop: Header=BB6_166 Depth=1
	s_or_b64 exec, exec, s[22:23]
	s_lshl_b64 s[18:19], s[20:21], 12
	v_mov_b32_e32 v2, s19
	v_add_co_u32_e32 v24, vcc, s18, v24
	v_addc_co_u32_e32 v29, vcc, v25, v2, vcc
	v_cmp_gt_u64_e64 vcc, s[12:13], 56
	v_or_b32_e32 v2, 2, v6
	s_lshl_b32 s18, s14, 2
	v_cndmask_b32_e32 v2, v2, v6, vcc
	s_add_i32 s18, s18, 28
	s_and_b32 s18, s18, 0x1e0
	v_and_b32_e32 v2, 0xffffff1f, v2
	v_or_b32_e32 v6, s18, v2
	v_readfirstlane_b32 s18, v24
	v_readfirstlane_b32 s19, v29
	s_nop 4
	global_store_dwordx4 v31, v[6:9], s[18:19]
	global_store_dwordx4 v31, v[10:13], s[18:19] offset:16
	global_store_dwordx4 v31, v[14:17], s[18:19] offset:32
	;; [unrolled: 1-line block ×3, first 2 shown]
	s_and_saveexec_b64 s[18:19], s[4:5]
	s_cbranch_execz .LBB6_237
; %bb.230:                              ;   in Loop: Header=BB6_166 Depth=1
	global_load_dwordx2 v[10:11], v26, s[6:7] offset:32 glc
	global_load_dwordx2 v[2:3], v26, s[6:7] offset:40
	v_mov_b32_e32 v8, s16
	v_mov_b32_e32 v9, s17
	s_waitcnt vmcnt(0)
	v_readfirstlane_b32 s20, v2
	v_readfirstlane_b32 s21, v3
	s_and_b64 s[20:21], s[20:21], s[16:17]
	s_mul_i32 s21, s21, 24
	s_mul_hi_u32 s22, s20, 24
	s_mul_i32 s20, s20, 24
	s_add_i32 s21, s22, s21
	v_mov_b32_e32 v3, s21
	v_add_co_u32_e32 v2, vcc, s20, v22
	v_addc_co_u32_e32 v3, vcc, v23, v3, vcc
	global_store_dwordx2 v[2:3], v[10:11], off
	s_waitcnt vmcnt(0)
	global_atomic_cmpswap_x2 v[8:9], v26, v[8:11], s[6:7] offset:32 glc
	s_waitcnt vmcnt(0)
	v_cmp_ne_u64_e32 vcc, v[8:9], v[10:11]
	s_and_saveexec_b64 s[20:21], vcc
	s_cbranch_execz .LBB6_233
; %bb.231:                              ;   in Loop: Header=BB6_166 Depth=1
	s_mov_b64 s[22:23], 0
.LBB6_232:                              ;   Parent Loop BB6_166 Depth=1
                                        ; =>  This Inner Loop Header: Depth=2
	s_sleep 1
	global_store_dwordx2 v[2:3], v[8:9], off
	v_mov_b32_e32 v6, s16
	v_mov_b32_e32 v7, s17
	s_waitcnt vmcnt(0)
	global_atomic_cmpswap_x2 v[6:7], v26, v[6:9], s[6:7] offset:32 glc
	s_waitcnt vmcnt(0)
	v_cmp_eq_u64_e32 vcc, v[6:7], v[8:9]
	v_mov_b32_e32 v9, v7
	s_or_b64 s[22:23], vcc, s[22:23]
	v_mov_b32_e32 v8, v6
	s_andn2_b64 exec, exec, s[22:23]
	s_cbranch_execnz .LBB6_232
.LBB6_233:                              ;   in Loop: Header=BB6_166 Depth=1
	s_or_b64 exec, exec, s[20:21]
	global_load_dwordx2 v[2:3], v26, s[6:7] offset:16
	s_mov_b64 s[22:23], exec
	v_mbcnt_lo_u32_b32 v6, s22, 0
	v_mbcnt_hi_u32_b32 v6, s23, v6
	v_cmp_eq_u32_e32 vcc, 0, v6
	s_and_saveexec_b64 s[20:21], vcc
	s_cbranch_execz .LBB6_235
; %bb.234:                              ;   in Loop: Header=BB6_166 Depth=1
	s_bcnt1_i32_b64 s22, s[22:23]
	v_mov_b32_e32 v25, s22
	s_waitcnt vmcnt(0)
	global_atomic_add_x2 v[2:3], v[25:26], off offset:8
.LBB6_235:                              ;   in Loop: Header=BB6_166 Depth=1
	s_or_b64 exec, exec, s[20:21]
	s_waitcnt vmcnt(0)
	global_load_dwordx2 v[6:7], v[2:3], off offset:16
	s_waitcnt vmcnt(0)
	v_cmp_eq_u64_e32 vcc, 0, v[6:7]
	s_cbranch_vccnz .LBB6_237
; %bb.236:                              ;   in Loop: Header=BB6_166 Depth=1
	global_load_dword v25, v[2:3], off offset:24
	s_waitcnt vmcnt(0)
	v_and_b32_e32 v2, 0xffffff, v25
	v_readfirstlane_b32 m0, v2
	global_store_dwordx2 v[6:7], v[25:26], off
	s_sendmsg sendmsg(MSG_INTERRUPT)
.LBB6_237:                              ;   in Loop: Header=BB6_166 Depth=1
	s_or_b64 exec, exec, s[18:19]
	v_add_co_u32_e32 v2, vcc, v24, v31
	v_addc_co_u32_e32 v3, vcc, 0, v29, vcc
	s_branch .LBB6_241
.LBB6_238:                              ;   in Loop: Header=BB6_241 Depth=2
	s_or_b64 exec, exec, s[18:19]
	v_readfirstlane_b32 s18, v6
	s_cmp_eq_u32 s18, 0
	s_cbranch_scc1 .LBB6_240
; %bb.239:                              ;   in Loop: Header=BB6_241 Depth=2
	s_sleep 1
	s_cbranch_execnz .LBB6_241
	s_branch .LBB6_243
.LBB6_240:                              ;   in Loop: Header=BB6_166 Depth=1
	s_branch .LBB6_243
.LBB6_241:                              ;   Parent Loop BB6_166 Depth=1
                                        ; =>  This Inner Loop Header: Depth=2
	v_mov_b32_e32 v6, 1
	s_and_saveexec_b64 s[18:19], s[4:5]
	s_cbranch_execz .LBB6_238
; %bb.242:                              ;   in Loop: Header=BB6_241 Depth=2
	global_load_dword v6, v[27:28], off offset:20 glc
	s_waitcnt vmcnt(0)
	buffer_wbinvl1_vol
	v_and_b32_e32 v6, 1, v6
	s_branch .LBB6_238
.LBB6_243:                              ;   in Loop: Header=BB6_166 Depth=1
	global_load_dwordx4 v[6:9], v[2:3], off
	s_and_saveexec_b64 s[18:19], s[4:5]
	s_cbranch_execz .LBB6_165
; %bb.244:                              ;   in Loop: Header=BB6_166 Depth=1
	global_load_dwordx2 v[2:3], v26, s[6:7] offset:40
	global_load_dwordx2 v[12:13], v26, s[6:7] offset:24 glc
	global_load_dwordx2 v[14:15], v26, s[6:7]
	s_waitcnt vmcnt(3)
	v_mov_b32_e32 v9, s17
	s_waitcnt vmcnt(2)
	v_add_co_u32_e32 v10, vcc, 1, v2
	v_addc_co_u32_e32 v11, vcc, 0, v3, vcc
	v_add_co_u32_e32 v8, vcc, s16, v10
	v_addc_co_u32_e32 v9, vcc, v11, v9, vcc
	v_cmp_eq_u64_e32 vcc, 0, v[8:9]
	v_cndmask_b32_e32 v9, v9, v11, vcc
	v_cndmask_b32_e32 v8, v8, v10, vcc
	v_and_b32_e32 v3, v9, v3
	v_and_b32_e32 v2, v8, v2
	v_mul_lo_u32 v3, v3, 24
	v_mul_hi_u32 v11, v2, 24
	v_mul_lo_u32 v2, v2, 24
	s_waitcnt vmcnt(1)
	v_mov_b32_e32 v10, v12
	v_add_u32_e32 v3, v11, v3
	s_waitcnt vmcnt(0)
	v_add_co_u32_e32 v2, vcc, v14, v2
	v_addc_co_u32_e32 v3, vcc, v15, v3, vcc
	global_store_dwordx2 v[2:3], v[12:13], off
	v_mov_b32_e32 v11, v13
	s_waitcnt vmcnt(0)
	global_atomic_cmpswap_x2 v[10:11], v26, v[8:11], s[6:7] offset:24 glc
	s_waitcnt vmcnt(0)
	v_cmp_ne_u64_e32 vcc, v[10:11], v[12:13]
	s_and_b64 exec, exec, vcc
	s_cbranch_execz .LBB6_165
; %bb.245:                              ;   in Loop: Header=BB6_166 Depth=1
	s_mov_b64 s[4:5], 0
.LBB6_246:                              ;   Parent Loop BB6_166 Depth=1
                                        ; =>  This Inner Loop Header: Depth=2
	s_sleep 1
	global_store_dwordx2 v[2:3], v[10:11], off
	s_waitcnt vmcnt(0)
	global_atomic_cmpswap_x2 v[12:13], v26, v[8:11], s[6:7] offset:24 glc
	s_waitcnt vmcnt(0)
	v_cmp_eq_u64_e32 vcc, v[12:13], v[10:11]
	v_mov_b32_e32 v10, v12
	s_or_b64 s[4:5], vcc, s[4:5]
	v_mov_b32_e32 v11, v13
	s_andn2_b64 exec, exec, s[4:5]
	s_cbranch_execnz .LBB6_246
	s_branch .LBB6_165
.LBB6_247:
	s_branch .LBB6_275
.LBB6_248:
	s_cbranch_execz .LBB6_275
; %bb.249:
	v_readfirstlane_b32 s4, v32
	s_waitcnt vmcnt(0)
	v_mov_b32_e32 v8, 0
	v_mov_b32_e32 v9, 0
	v_cmp_eq_u32_e64 s[4:5], s4, v32
	s_and_saveexec_b64 s[10:11], s[4:5]
	s_cbranch_execz .LBB6_255
; %bb.250:
	v_mov_b32_e32 v2, 0
	global_load_dwordx2 v[5:6], v2, s[6:7] offset:24 glc
	s_waitcnt vmcnt(0)
	buffer_wbinvl1_vol
	global_load_dwordx2 v[3:4], v2, s[6:7] offset:40
	global_load_dwordx2 v[7:8], v2, s[6:7]
	s_waitcnt vmcnt(1)
	v_and_b32_e32 v3, v3, v5
	v_and_b32_e32 v4, v4, v6
	v_mul_lo_u32 v4, v4, 24
	v_mul_hi_u32 v9, v3, 24
	v_mul_lo_u32 v3, v3, 24
	v_add_u32_e32 v4, v9, v4
	s_waitcnt vmcnt(0)
	v_add_co_u32_e32 v3, vcc, v7, v3
	v_addc_co_u32_e32 v4, vcc, v8, v4, vcc
	global_load_dwordx2 v[3:4], v[3:4], off glc
	s_waitcnt vmcnt(0)
	global_atomic_cmpswap_x2 v[8:9], v2, v[3:6], s[6:7] offset:24 glc
	s_waitcnt vmcnt(0)
	buffer_wbinvl1_vol
	v_cmp_ne_u64_e32 vcc, v[8:9], v[5:6]
	s_and_saveexec_b64 s[12:13], vcc
	s_cbranch_execz .LBB6_254
; %bb.251:
	s_mov_b64 s[14:15], 0
.LBB6_252:                              ; =>This Inner Loop Header: Depth=1
	s_sleep 1
	global_load_dwordx2 v[3:4], v2, s[6:7] offset:40
	global_load_dwordx2 v[10:11], v2, s[6:7]
	v_mov_b32_e32 v5, v8
	v_mov_b32_e32 v6, v9
	s_waitcnt vmcnt(1)
	v_and_b32_e32 v3, v3, v5
	s_waitcnt vmcnt(0)
	v_mad_u64_u32 v[7:8], s[16:17], v3, 24, v[10:11]
	v_and_b32_e32 v4, v4, v6
	v_mov_b32_e32 v3, v8
	v_mad_u64_u32 v[3:4], s[16:17], v4, 24, v[3:4]
	v_mov_b32_e32 v8, v3
	global_load_dwordx2 v[3:4], v[7:8], off glc
	s_waitcnt vmcnt(0)
	global_atomic_cmpswap_x2 v[8:9], v2, v[3:6], s[6:7] offset:24 glc
	s_waitcnt vmcnt(0)
	buffer_wbinvl1_vol
	v_cmp_eq_u64_e32 vcc, v[8:9], v[5:6]
	s_or_b64 s[14:15], vcc, s[14:15]
	s_andn2_b64 exec, exec, s[14:15]
	s_cbranch_execnz .LBB6_252
; %bb.253:
	s_or_b64 exec, exec, s[14:15]
.LBB6_254:
	s_or_b64 exec, exec, s[12:13]
.LBB6_255:
	s_or_b64 exec, exec, s[10:11]
	v_mov_b32_e32 v2, 0
	global_load_dwordx2 v[10:11], v2, s[6:7] offset:40
	global_load_dwordx4 v[4:7], v2, s[6:7]
	v_readfirstlane_b32 s10, v8
	v_readfirstlane_b32 s11, v9
	s_mov_b64 s[12:13], exec
	s_waitcnt vmcnt(1)
	v_readfirstlane_b32 s14, v10
	v_readfirstlane_b32 s15, v11
	s_and_b64 s[14:15], s[10:11], s[14:15]
	s_mul_i32 s16, s15, 24
	s_mul_hi_u32 s17, s14, 24
	s_mul_i32 s18, s14, 24
	s_add_i32 s16, s17, s16
	v_mov_b32_e32 v3, s16
	s_waitcnt vmcnt(0)
	v_add_co_u32_e32 v8, vcc, s18, v4
	v_addc_co_u32_e32 v9, vcc, v5, v3, vcc
	s_and_saveexec_b64 s[16:17], s[4:5]
	s_cbranch_execz .LBB6_257
; %bb.256:
	v_mov_b32_e32 v10, s12
	v_mov_b32_e32 v11, s13
	;; [unrolled: 1-line block ×4, first 2 shown]
	global_store_dwordx4 v[8:9], v[10:13], off offset:8
.LBB6_257:
	s_or_b64 exec, exec, s[16:17]
	s_lshl_b64 s[12:13], s[14:15], 12
	v_mov_b32_e32 v3, s13
	v_add_co_u32_e32 v6, vcc, s12, v6
	v_addc_co_u32_e32 v7, vcc, v7, v3, vcc
	s_movk_i32 s12, 0xff1d
	v_and_or_b32 v0, v0, s12, 34
	s_mov_b32 s12, 0
	v_mov_b32_e32 v3, v2
	v_readfirstlane_b32 s16, v6
	v_readfirstlane_b32 s17, v7
	s_mov_b32 s13, s12
	s_mov_b32 s14, s12
	;; [unrolled: 1-line block ×3, first 2 shown]
	s_nop 1
	global_store_dwordx4 v31, v[0:3], s[16:17]
	s_nop 0
	v_mov_b32_e32 v0, s12
	v_mov_b32_e32 v1, s13
	v_mov_b32_e32 v2, s14
	v_mov_b32_e32 v3, s15
	global_store_dwordx4 v31, v[0:3], s[16:17] offset:16
	global_store_dwordx4 v31, v[0:3], s[16:17] offset:32
	;; [unrolled: 1-line block ×3, first 2 shown]
	s_and_saveexec_b64 s[12:13], s[4:5]
	s_cbranch_execz .LBB6_265
; %bb.258:
	v_mov_b32_e32 v6, 0
	global_load_dwordx2 v[12:13], v6, s[6:7] offset:32 glc
	global_load_dwordx2 v[0:1], v6, s[6:7] offset:40
	v_mov_b32_e32 v10, s10
	v_mov_b32_e32 v11, s11
	s_waitcnt vmcnt(0)
	v_readfirstlane_b32 s14, v0
	v_readfirstlane_b32 s15, v1
	s_and_b64 s[14:15], s[14:15], s[10:11]
	s_mul_i32 s15, s15, 24
	s_mul_hi_u32 s16, s14, 24
	s_mul_i32 s14, s14, 24
	s_add_i32 s15, s16, s15
	v_mov_b32_e32 v0, s15
	v_add_co_u32_e32 v4, vcc, s14, v4
	v_addc_co_u32_e32 v5, vcc, v5, v0, vcc
	global_store_dwordx2 v[4:5], v[12:13], off
	s_waitcnt vmcnt(0)
	global_atomic_cmpswap_x2 v[2:3], v6, v[10:13], s[6:7] offset:32 glc
	s_waitcnt vmcnt(0)
	v_cmp_ne_u64_e32 vcc, v[2:3], v[12:13]
	s_and_saveexec_b64 s[14:15], vcc
	s_cbranch_execz .LBB6_261
; %bb.259:
	s_mov_b64 s[16:17], 0
.LBB6_260:                              ; =>This Inner Loop Header: Depth=1
	s_sleep 1
	global_store_dwordx2 v[4:5], v[2:3], off
	v_mov_b32_e32 v0, s10
	v_mov_b32_e32 v1, s11
	s_waitcnt vmcnt(0)
	global_atomic_cmpswap_x2 v[0:1], v6, v[0:3], s[6:7] offset:32 glc
	s_waitcnt vmcnt(0)
	v_cmp_eq_u64_e32 vcc, v[0:1], v[2:3]
	v_mov_b32_e32 v3, v1
	s_or_b64 s[16:17], vcc, s[16:17]
	v_mov_b32_e32 v2, v0
	s_andn2_b64 exec, exec, s[16:17]
	s_cbranch_execnz .LBB6_260
.LBB6_261:
	s_or_b64 exec, exec, s[14:15]
	v_mov_b32_e32 v3, 0
	global_load_dwordx2 v[0:1], v3, s[6:7] offset:16
	s_mov_b64 s[14:15], exec
	v_mbcnt_lo_u32_b32 v2, s14, 0
	v_mbcnt_hi_u32_b32 v2, s15, v2
	v_cmp_eq_u32_e32 vcc, 0, v2
	s_and_saveexec_b64 s[16:17], vcc
	s_cbranch_execz .LBB6_263
; %bb.262:
	s_bcnt1_i32_b64 s14, s[14:15]
	v_mov_b32_e32 v2, s14
	s_waitcnt vmcnt(0)
	global_atomic_add_x2 v[0:1], v[2:3], off offset:8
.LBB6_263:
	s_or_b64 exec, exec, s[16:17]
	s_waitcnt vmcnt(0)
	global_load_dwordx2 v[2:3], v[0:1], off offset:16
	s_waitcnt vmcnt(0)
	v_cmp_eq_u64_e32 vcc, 0, v[2:3]
	s_cbranch_vccnz .LBB6_265
; %bb.264:
	global_load_dword v0, v[0:1], off offset:24
	v_mov_b32_e32 v1, 0
	s_waitcnt vmcnt(0)
	global_store_dwordx2 v[2:3], v[0:1], off
	v_and_b32_e32 v0, 0xffffff, v0
	v_readfirstlane_b32 m0, v0
	s_sendmsg sendmsg(MSG_INTERRUPT)
.LBB6_265:
	s_or_b64 exec, exec, s[12:13]
	s_branch .LBB6_269
.LBB6_266:                              ;   in Loop: Header=BB6_269 Depth=1
	s_or_b64 exec, exec, s[12:13]
	v_readfirstlane_b32 s12, v0
	s_cmp_eq_u32 s12, 0
	s_cbranch_scc1 .LBB6_268
; %bb.267:                              ;   in Loop: Header=BB6_269 Depth=1
	s_sleep 1
	s_cbranch_execnz .LBB6_269
	s_branch .LBB6_271
.LBB6_268:
	s_branch .LBB6_271
.LBB6_269:                              ; =>This Inner Loop Header: Depth=1
	v_mov_b32_e32 v0, 1
	s_and_saveexec_b64 s[12:13], s[4:5]
	s_cbranch_execz .LBB6_266
; %bb.270:                              ;   in Loop: Header=BB6_269 Depth=1
	global_load_dword v0, v[8:9], off offset:20 glc
	s_waitcnt vmcnt(0)
	buffer_wbinvl1_vol
	v_and_b32_e32 v0, 1, v0
	s_branch .LBB6_266
.LBB6_271:
	s_and_saveexec_b64 s[12:13], s[4:5]
	s_cbranch_execz .LBB6_274
; %bb.272:
	v_mov_b32_e32 v6, 0
	global_load_dwordx2 v[2:3], v6, s[6:7] offset:40
	global_load_dwordx2 v[7:8], v6, s[6:7] offset:24 glc
	global_load_dwordx2 v[4:5], v6, s[6:7]
	v_mov_b32_e32 v1, s11
	s_mov_b64 s[4:5], 0
	s_waitcnt vmcnt(2)
	v_add_co_u32_e32 v9, vcc, 1, v2
	v_addc_co_u32_e32 v10, vcc, 0, v3, vcc
	v_add_co_u32_e32 v0, vcc, s10, v9
	v_addc_co_u32_e32 v1, vcc, v10, v1, vcc
	v_cmp_eq_u64_e32 vcc, 0, v[0:1]
	v_cndmask_b32_e32 v1, v1, v10, vcc
	v_cndmask_b32_e32 v0, v0, v9, vcc
	v_and_b32_e32 v3, v1, v3
	v_and_b32_e32 v2, v0, v2
	v_mul_lo_u32 v3, v3, 24
	v_mul_hi_u32 v9, v2, 24
	v_mul_lo_u32 v10, v2, 24
	s_waitcnt vmcnt(1)
	v_mov_b32_e32 v2, v7
	v_add_u32_e32 v3, v9, v3
	s_waitcnt vmcnt(0)
	v_add_co_u32_e32 v4, vcc, v4, v10
	v_addc_co_u32_e32 v5, vcc, v5, v3, vcc
	global_store_dwordx2 v[4:5], v[7:8], off
	v_mov_b32_e32 v3, v8
	s_waitcnt vmcnt(0)
	global_atomic_cmpswap_x2 v[2:3], v6, v[0:3], s[6:7] offset:24 glc
	s_waitcnt vmcnt(0)
	v_cmp_ne_u64_e32 vcc, v[2:3], v[7:8]
	s_and_b64 exec, exec, vcc
	s_cbranch_execz .LBB6_274
.LBB6_273:                              ; =>This Inner Loop Header: Depth=1
	s_sleep 1
	global_store_dwordx2 v[4:5], v[2:3], off
	s_waitcnt vmcnt(0)
	global_atomic_cmpswap_x2 v[7:8], v6, v[0:3], s[6:7] offset:24 glc
	s_waitcnt vmcnt(0)
	v_cmp_eq_u64_e32 vcc, v[7:8], v[2:3]
	v_mov_b32_e32 v2, v7
	s_or_b64 s[4:5], vcc, s[4:5]
	v_mov_b32_e32 v3, v8
	s_andn2_b64 exec, exec, s[4:5]
	s_cbranch_execnz .LBB6_273
.LBB6_274:
	s_or_b64 exec, exec, s[12:13]
.LBB6_275:
	v_readfirstlane_b32 s4, v32
	s_waitcnt vmcnt(0)
	v_mov_b32_e32 v5, 0
	v_mov_b32_e32 v6, 0
	v_cmp_eq_u32_e64 s[4:5], s4, v32
	s_and_saveexec_b64 s[10:11], s[4:5]
	s_cbranch_execz .LBB6_281
; %bb.276:
	v_mov_b32_e32 v0, 0
	global_load_dwordx2 v[3:4], v0, s[6:7] offset:24 glc
	s_waitcnt vmcnt(0)
	buffer_wbinvl1_vol
	global_load_dwordx2 v[1:2], v0, s[6:7] offset:40
	global_load_dwordx2 v[5:6], v0, s[6:7]
	s_waitcnt vmcnt(1)
	v_and_b32_e32 v1, v1, v3
	v_and_b32_e32 v2, v2, v4
	v_mul_lo_u32 v2, v2, 24
	v_mul_hi_u32 v7, v1, 24
	v_mul_lo_u32 v1, v1, 24
	v_add_u32_e32 v2, v7, v2
	s_waitcnt vmcnt(0)
	v_add_co_u32_e32 v1, vcc, v5, v1
	v_addc_co_u32_e32 v2, vcc, v6, v2, vcc
	global_load_dwordx2 v[1:2], v[1:2], off glc
	s_waitcnt vmcnt(0)
	global_atomic_cmpswap_x2 v[5:6], v0, v[1:4], s[6:7] offset:24 glc
	s_waitcnt vmcnt(0)
	buffer_wbinvl1_vol
	v_cmp_ne_u64_e32 vcc, v[5:6], v[3:4]
	s_and_saveexec_b64 s[12:13], vcc
	s_cbranch_execz .LBB6_280
; %bb.277:
	s_mov_b64 s[14:15], 0
.LBB6_278:                              ; =>This Inner Loop Header: Depth=1
	s_sleep 1
	global_load_dwordx2 v[1:2], v0, s[6:7] offset:40
	global_load_dwordx2 v[7:8], v0, s[6:7]
	v_mov_b32_e32 v3, v5
	v_mov_b32_e32 v4, v6
	s_waitcnt vmcnt(1)
	v_and_b32_e32 v1, v1, v3
	s_waitcnt vmcnt(0)
	v_mad_u64_u32 v[5:6], s[16:17], v1, 24, v[7:8]
	v_and_b32_e32 v2, v2, v4
	v_mov_b32_e32 v1, v6
	v_mad_u64_u32 v[1:2], s[16:17], v2, 24, v[1:2]
	v_mov_b32_e32 v6, v1
	global_load_dwordx2 v[1:2], v[5:6], off glc
	s_waitcnt vmcnt(0)
	global_atomic_cmpswap_x2 v[5:6], v0, v[1:4], s[6:7] offset:24 glc
	s_waitcnt vmcnt(0)
	buffer_wbinvl1_vol
	v_cmp_eq_u64_e32 vcc, v[5:6], v[3:4]
	s_or_b64 s[14:15], vcc, s[14:15]
	s_andn2_b64 exec, exec, s[14:15]
	s_cbranch_execnz .LBB6_278
; %bb.279:
	s_or_b64 exec, exec, s[14:15]
.LBB6_280:
	s_or_b64 exec, exec, s[12:13]
.LBB6_281:
	s_or_b64 exec, exec, s[10:11]
	v_mov_b32_e32 v4, 0
	global_load_dwordx2 v[7:8], v4, s[6:7] offset:40
	global_load_dwordx4 v[0:3], v4, s[6:7]
	v_readfirstlane_b32 s10, v5
	v_readfirstlane_b32 s11, v6
	s_mov_b64 s[12:13], exec
	s_waitcnt vmcnt(1)
	v_readfirstlane_b32 s14, v7
	v_readfirstlane_b32 s15, v8
	s_and_b64 s[14:15], s[10:11], s[14:15]
	s_mul_i32 s16, s15, 24
	s_mul_hi_u32 s17, s14, 24
	s_mul_i32 s18, s14, 24
	s_add_i32 s16, s17, s16
	v_mov_b32_e32 v5, s16
	s_waitcnt vmcnt(0)
	v_add_co_u32_e32 v7, vcc, s18, v0
	v_addc_co_u32_e32 v8, vcc, v1, v5, vcc
	s_and_saveexec_b64 s[16:17], s[4:5]
	s_cbranch_execz .LBB6_283
; %bb.282:
	v_mov_b32_e32 v9, s12
	v_mov_b32_e32 v10, s13
	;; [unrolled: 1-line block ×4, first 2 shown]
	global_store_dwordx4 v[7:8], v[9:12], off offset:8
.LBB6_283:
	s_or_b64 exec, exec, s[16:17]
	s_lshl_b64 s[12:13], s[14:15], 12
	v_mov_b32_e32 v5, s13
	v_add_co_u32_e32 v2, vcc, s12, v2
	v_addc_co_u32_e32 v11, vcc, v3, v5, vcc
	s_mov_b32 s12, 0
	v_mov_b32_e32 v3, 33
	v_mov_b32_e32 v5, v4
	;; [unrolled: 1-line block ×3, first 2 shown]
	v_readfirstlane_b32 s16, v2
	v_readfirstlane_b32 s17, v11
	v_add_co_u32_e32 v9, vcc, v2, v31
	s_mov_b32 s13, s12
	s_mov_b32 s14, s12
	;; [unrolled: 1-line block ×3, first 2 shown]
	s_nop 0
	global_store_dwordx4 v31, v[3:6], s[16:17]
	v_mov_b32_e32 v2, s12
	v_addc_co_u32_e32 v10, vcc, 0, v11, vcc
	v_mov_b32_e32 v3, s13
	v_mov_b32_e32 v4, s14
	;; [unrolled: 1-line block ×3, first 2 shown]
	global_store_dwordx4 v31, v[2:5], s[16:17] offset:16
	global_store_dwordx4 v31, v[2:5], s[16:17] offset:32
	;; [unrolled: 1-line block ×3, first 2 shown]
	s_and_saveexec_b64 s[12:13], s[4:5]
	s_cbranch_execz .LBB6_291
; %bb.284:
	v_mov_b32_e32 v6, 0
	global_load_dwordx2 v[13:14], v6, s[6:7] offset:32 glc
	global_load_dwordx2 v[2:3], v6, s[6:7] offset:40
	v_mov_b32_e32 v11, s10
	v_mov_b32_e32 v12, s11
	s_waitcnt vmcnt(0)
	v_readfirstlane_b32 s14, v2
	v_readfirstlane_b32 s15, v3
	s_and_b64 s[14:15], s[14:15], s[10:11]
	s_mul_i32 s15, s15, 24
	s_mul_hi_u32 s16, s14, 24
	s_mul_i32 s14, s14, 24
	s_add_i32 s15, s16, s15
	v_mov_b32_e32 v2, s15
	v_add_co_u32_e32 v4, vcc, s14, v0
	v_addc_co_u32_e32 v5, vcc, v1, v2, vcc
	global_store_dwordx2 v[4:5], v[13:14], off
	s_waitcnt vmcnt(0)
	global_atomic_cmpswap_x2 v[2:3], v6, v[11:14], s[6:7] offset:32 glc
	s_waitcnt vmcnt(0)
	v_cmp_ne_u64_e32 vcc, v[2:3], v[13:14]
	s_and_saveexec_b64 s[14:15], vcc
	s_cbranch_execz .LBB6_287
; %bb.285:
	s_mov_b64 s[16:17], 0
.LBB6_286:                              ; =>This Inner Loop Header: Depth=1
	s_sleep 1
	global_store_dwordx2 v[4:5], v[2:3], off
	v_mov_b32_e32 v0, s10
	v_mov_b32_e32 v1, s11
	s_waitcnt vmcnt(0)
	global_atomic_cmpswap_x2 v[0:1], v6, v[0:3], s[6:7] offset:32 glc
	s_waitcnt vmcnt(0)
	v_cmp_eq_u64_e32 vcc, v[0:1], v[2:3]
	v_mov_b32_e32 v3, v1
	s_or_b64 s[16:17], vcc, s[16:17]
	v_mov_b32_e32 v2, v0
	s_andn2_b64 exec, exec, s[16:17]
	s_cbranch_execnz .LBB6_286
.LBB6_287:
	s_or_b64 exec, exec, s[14:15]
	v_mov_b32_e32 v3, 0
	global_load_dwordx2 v[0:1], v3, s[6:7] offset:16
	s_mov_b64 s[14:15], exec
	v_mbcnt_lo_u32_b32 v2, s14, 0
	v_mbcnt_hi_u32_b32 v2, s15, v2
	v_cmp_eq_u32_e32 vcc, 0, v2
	s_and_saveexec_b64 s[16:17], vcc
	s_cbranch_execz .LBB6_289
; %bb.288:
	s_bcnt1_i32_b64 s14, s[14:15]
	v_mov_b32_e32 v2, s14
	s_waitcnt vmcnt(0)
	global_atomic_add_x2 v[0:1], v[2:3], off offset:8
.LBB6_289:
	s_or_b64 exec, exec, s[16:17]
	s_waitcnt vmcnt(0)
	global_load_dwordx2 v[2:3], v[0:1], off offset:16
	s_waitcnt vmcnt(0)
	v_cmp_eq_u64_e32 vcc, 0, v[2:3]
	s_cbranch_vccnz .LBB6_291
; %bb.290:
	global_load_dword v0, v[0:1], off offset:24
	v_mov_b32_e32 v1, 0
	s_waitcnt vmcnt(0)
	global_store_dwordx2 v[2:3], v[0:1], off
	v_and_b32_e32 v0, 0xffffff, v0
	v_readfirstlane_b32 m0, v0
	s_sendmsg sendmsg(MSG_INTERRUPT)
.LBB6_291:
	s_or_b64 exec, exec, s[12:13]
	s_branch .LBB6_295
.LBB6_292:                              ;   in Loop: Header=BB6_295 Depth=1
	s_or_b64 exec, exec, s[12:13]
	v_readfirstlane_b32 s12, v0
	s_cmp_eq_u32 s12, 0
	s_cbranch_scc1 .LBB6_294
; %bb.293:                              ;   in Loop: Header=BB6_295 Depth=1
	s_sleep 1
	s_cbranch_execnz .LBB6_295
	s_branch .LBB6_297
.LBB6_294:
	s_branch .LBB6_297
.LBB6_295:                              ; =>This Inner Loop Header: Depth=1
	v_mov_b32_e32 v0, 1
	s_and_saveexec_b64 s[12:13], s[4:5]
	s_cbranch_execz .LBB6_292
; %bb.296:                              ;   in Loop: Header=BB6_295 Depth=1
	global_load_dword v0, v[7:8], off offset:20 glc
	s_waitcnt vmcnt(0)
	buffer_wbinvl1_vol
	v_and_b32_e32 v0, 1, v0
	s_branch .LBB6_292
.LBB6_297:
	global_load_dwordx2 v[0:1], v[9:10], off
	s_and_saveexec_b64 s[12:13], s[4:5]
	s_cbranch_execz .LBB6_300
; %bb.298:
	v_mov_b32_e32 v8, 0
	global_load_dwordx2 v[4:5], v8, s[6:7] offset:40
	global_load_dwordx2 v[9:10], v8, s[6:7] offset:24 glc
	global_load_dwordx2 v[6:7], v8, s[6:7]
	v_mov_b32_e32 v3, s11
	s_mov_b64 s[4:5], 0
	s_waitcnt vmcnt(2)
	v_add_co_u32_e32 v11, vcc, 1, v4
	v_addc_co_u32_e32 v12, vcc, 0, v5, vcc
	v_add_co_u32_e32 v2, vcc, s10, v11
	v_addc_co_u32_e32 v3, vcc, v12, v3, vcc
	v_cmp_eq_u64_e32 vcc, 0, v[2:3]
	v_cndmask_b32_e32 v3, v3, v12, vcc
	v_cndmask_b32_e32 v2, v2, v11, vcc
	v_and_b32_e32 v5, v3, v5
	v_and_b32_e32 v4, v2, v4
	v_mul_lo_u32 v5, v5, 24
	v_mul_hi_u32 v11, v4, 24
	v_mul_lo_u32 v12, v4, 24
	s_waitcnt vmcnt(1)
	v_mov_b32_e32 v4, v9
	v_add_u32_e32 v5, v11, v5
	s_waitcnt vmcnt(0)
	v_add_co_u32_e32 v6, vcc, v6, v12
	v_addc_co_u32_e32 v7, vcc, v7, v5, vcc
	global_store_dwordx2 v[6:7], v[9:10], off
	v_mov_b32_e32 v5, v10
	s_waitcnt vmcnt(0)
	global_atomic_cmpswap_x2 v[4:5], v8, v[2:5], s[6:7] offset:24 glc
	s_waitcnt vmcnt(0)
	v_cmp_ne_u64_e32 vcc, v[4:5], v[9:10]
	s_and_b64 exec, exec, vcc
	s_cbranch_execz .LBB6_300
.LBB6_299:                              ; =>This Inner Loop Header: Depth=1
	s_sleep 1
	global_store_dwordx2 v[6:7], v[4:5], off
	s_waitcnt vmcnt(0)
	global_atomic_cmpswap_x2 v[9:10], v8, v[2:5], s[6:7] offset:24 glc
	s_waitcnt vmcnt(0)
	v_cmp_eq_u64_e32 vcc, v[9:10], v[4:5]
	v_mov_b32_e32 v4, v9
	s_or_b64 s[4:5], vcc, s[4:5]
	v_mov_b32_e32 v5, v10
	s_andn2_b64 exec, exec, s[4:5]
	s_cbranch_execnz .LBB6_299
.LBB6_300:
	s_or_b64 exec, exec, s[12:13]
	s_getpc_b64 s[12:13]
	s_add_u32 s12, s12, .str.6@rel32@lo+4
	s_addc_u32 s13, s13, .str.6@rel32@hi+12
	s_cmp_lg_u64 s[12:13], 0
	s_cselect_b64 s[10:11], -1, 0
	s_and_b64 vcc, exec, s[10:11]
	s_cbranch_vccz .LBB6_385
; %bb.301:
	s_waitcnt vmcnt(0)
	v_and_b32_e32 v33, 2, v0
	v_mov_b32_e32 v28, 0
	v_and_b32_e32 v2, -3, v0
	v_mov_b32_e32 v3, v1
	s_mov_b64 s[14:15], 3
	v_mov_b32_e32 v6, 2
	v_mov_b32_e32 v7, 1
	s_branch .LBB6_303
.LBB6_302:                              ;   in Loop: Header=BB6_303 Depth=1
	s_or_b64 exec, exec, s[20:21]
	s_sub_u32 s14, s14, s16
	s_subb_u32 s15, s15, s17
	s_add_u32 s12, s12, s16
	s_addc_u32 s13, s13, s17
	s_cmp_lg_u64 s[14:15], 0
	s_cbranch_scc0 .LBB6_384
.LBB6_303:                              ; =>This Loop Header: Depth=1
                                        ;     Child Loop BB6_306 Depth 2
                                        ;     Child Loop BB6_313 Depth 2
	;; [unrolled: 1-line block ×11, first 2 shown]
	v_cmp_lt_u64_e64 s[4:5], s[14:15], 56
	v_cmp_gt_u64_e64 s[18:19], s[14:15], 7
	s_and_b64 s[4:5], s[4:5], exec
	s_cselect_b32 s17, s15, 0
	s_cselect_b32 s16, s14, 56
	s_and_b64 vcc, exec, s[18:19]
	s_cbranch_vccnz .LBB6_308
; %bb.304:                              ;   in Loop: Header=BB6_303 Depth=1
	v_mov_b32_e32 v10, 0
	s_cmp_eq_u64 s[14:15], 0
	v_mov_b32_e32 v11, 0
	s_mov_b64 s[4:5], 0
	s_cbranch_scc1 .LBB6_307
; %bb.305:                              ;   in Loop: Header=BB6_303 Depth=1
	v_mov_b32_e32 v10, 0
	s_lshl_b64 s[18:19], s[16:17], 3
	s_mov_b64 s[20:21], 0
	v_mov_b32_e32 v11, 0
	s_mov_b64 s[22:23], s[12:13]
.LBB6_306:                              ;   Parent Loop BB6_303 Depth=1
                                        ; =>  This Inner Loop Header: Depth=2
	global_load_ubyte v4, v28, s[22:23]
	s_waitcnt vmcnt(0)
	v_and_b32_e32 v27, 0xffff, v4
	v_lshlrev_b64 v[4:5], s20, v[27:28]
	s_add_u32 s20, s20, 8
	s_addc_u32 s21, s21, 0
	s_add_u32 s22, s22, 1
	s_addc_u32 s23, s23, 0
	v_or_b32_e32 v10, v4, v10
	s_cmp_lg_u32 s18, s20
	v_or_b32_e32 v11, v5, v11
	s_cbranch_scc1 .LBB6_306
.LBB6_307:                              ;   in Loop: Header=BB6_303 Depth=1
	s_mov_b32 s22, 0
	s_andn2_b64 vcc, exec, s[4:5]
	s_mov_b64 s[4:5], s[12:13]
	s_cbranch_vccz .LBB6_309
	s_branch .LBB6_310
.LBB6_308:                              ;   in Loop: Header=BB6_303 Depth=1
                                        ; implicit-def: $vgpr10_vgpr11
                                        ; implicit-def: $sgpr22
	s_mov_b64 s[4:5], s[12:13]
.LBB6_309:                              ;   in Loop: Header=BB6_303 Depth=1
	global_load_dwordx2 v[10:11], v28, s[12:13]
	s_add_i32 s22, s16, -8
	s_add_u32 s4, s12, 8
	s_addc_u32 s5, s13, 0
.LBB6_310:                              ;   in Loop: Header=BB6_303 Depth=1
	s_cmp_gt_u32 s22, 7
	s_cbranch_scc1 .LBB6_314
; %bb.311:                              ;   in Loop: Header=BB6_303 Depth=1
	s_cmp_eq_u32 s22, 0
	s_cbranch_scc1 .LBB6_315
; %bb.312:                              ;   in Loop: Header=BB6_303 Depth=1
	v_mov_b32_e32 v12, 0
	s_mov_b64 s[18:19], 0
	v_mov_b32_e32 v13, 0
	s_mov_b64 s[20:21], 0
.LBB6_313:                              ;   Parent Loop BB6_303 Depth=1
                                        ; =>  This Inner Loop Header: Depth=2
	s_add_u32 s24, s4, s20
	s_addc_u32 s25, s5, s21
	global_load_ubyte v4, v28, s[24:25]
	s_add_u32 s20, s20, 1
	s_addc_u32 s21, s21, 0
	s_waitcnt vmcnt(0)
	v_and_b32_e32 v27, 0xffff, v4
	v_lshlrev_b64 v[4:5], s18, v[27:28]
	s_add_u32 s18, s18, 8
	s_addc_u32 s19, s19, 0
	v_or_b32_e32 v12, v4, v12
	s_cmp_lg_u32 s22, s20
	v_or_b32_e32 v13, v5, v13
	s_cbranch_scc1 .LBB6_313
	s_branch .LBB6_316
.LBB6_314:                              ;   in Loop: Header=BB6_303 Depth=1
                                        ; implicit-def: $vgpr12_vgpr13
                                        ; implicit-def: $sgpr23
	s_branch .LBB6_317
.LBB6_315:                              ;   in Loop: Header=BB6_303 Depth=1
	v_mov_b32_e32 v12, 0
	v_mov_b32_e32 v13, 0
.LBB6_316:                              ;   in Loop: Header=BB6_303 Depth=1
	s_mov_b32 s23, 0
	s_cbranch_execnz .LBB6_318
.LBB6_317:                              ;   in Loop: Header=BB6_303 Depth=1
	global_load_dwordx2 v[12:13], v28, s[4:5]
	s_add_i32 s23, s22, -8
	s_add_u32 s4, s4, 8
	s_addc_u32 s5, s5, 0
.LBB6_318:                              ;   in Loop: Header=BB6_303 Depth=1
	s_cmp_gt_u32 s23, 7
	s_cbranch_scc1 .LBB6_322
; %bb.319:                              ;   in Loop: Header=BB6_303 Depth=1
	s_cmp_eq_u32 s23, 0
	s_cbranch_scc1 .LBB6_323
; %bb.320:                              ;   in Loop: Header=BB6_303 Depth=1
	v_mov_b32_e32 v14, 0
	s_mov_b64 s[18:19], 0
	v_mov_b32_e32 v15, 0
	s_mov_b64 s[20:21], 0
.LBB6_321:                              ;   Parent Loop BB6_303 Depth=1
                                        ; =>  This Inner Loop Header: Depth=2
	s_add_u32 s24, s4, s20
	s_addc_u32 s25, s5, s21
	global_load_ubyte v4, v28, s[24:25]
	s_add_u32 s20, s20, 1
	s_addc_u32 s21, s21, 0
	s_waitcnt vmcnt(0)
	v_and_b32_e32 v27, 0xffff, v4
	v_lshlrev_b64 v[4:5], s18, v[27:28]
	s_add_u32 s18, s18, 8
	s_addc_u32 s19, s19, 0
	v_or_b32_e32 v14, v4, v14
	s_cmp_lg_u32 s23, s20
	v_or_b32_e32 v15, v5, v15
	s_cbranch_scc1 .LBB6_321
	s_branch .LBB6_324
.LBB6_322:                              ;   in Loop: Header=BB6_303 Depth=1
                                        ; implicit-def: $sgpr22
	s_branch .LBB6_325
.LBB6_323:                              ;   in Loop: Header=BB6_303 Depth=1
	v_mov_b32_e32 v14, 0
	v_mov_b32_e32 v15, 0
.LBB6_324:                              ;   in Loop: Header=BB6_303 Depth=1
	s_mov_b32 s22, 0
	s_cbranch_execnz .LBB6_326
.LBB6_325:                              ;   in Loop: Header=BB6_303 Depth=1
	global_load_dwordx2 v[14:15], v28, s[4:5]
	s_add_i32 s22, s23, -8
	s_add_u32 s4, s4, 8
	s_addc_u32 s5, s5, 0
.LBB6_326:                              ;   in Loop: Header=BB6_303 Depth=1
	s_cmp_gt_u32 s22, 7
	s_cbranch_scc1 .LBB6_330
; %bb.327:                              ;   in Loop: Header=BB6_303 Depth=1
	s_cmp_eq_u32 s22, 0
	s_cbranch_scc1 .LBB6_331
; %bb.328:                              ;   in Loop: Header=BB6_303 Depth=1
	v_mov_b32_e32 v16, 0
	s_mov_b64 s[18:19], 0
	v_mov_b32_e32 v17, 0
	s_mov_b64 s[20:21], 0
.LBB6_329:                              ;   Parent Loop BB6_303 Depth=1
                                        ; =>  This Inner Loop Header: Depth=2
	s_add_u32 s24, s4, s20
	s_addc_u32 s25, s5, s21
	global_load_ubyte v4, v28, s[24:25]
	s_add_u32 s20, s20, 1
	s_addc_u32 s21, s21, 0
	s_waitcnt vmcnt(0)
	v_and_b32_e32 v27, 0xffff, v4
	v_lshlrev_b64 v[4:5], s18, v[27:28]
	s_add_u32 s18, s18, 8
	s_addc_u32 s19, s19, 0
	v_or_b32_e32 v16, v4, v16
	s_cmp_lg_u32 s22, s20
	v_or_b32_e32 v17, v5, v17
	s_cbranch_scc1 .LBB6_329
	s_branch .LBB6_332
.LBB6_330:                              ;   in Loop: Header=BB6_303 Depth=1
                                        ; implicit-def: $vgpr16_vgpr17
                                        ; implicit-def: $sgpr23
	s_branch .LBB6_333
.LBB6_331:                              ;   in Loop: Header=BB6_303 Depth=1
	v_mov_b32_e32 v16, 0
	v_mov_b32_e32 v17, 0
.LBB6_332:                              ;   in Loop: Header=BB6_303 Depth=1
	s_mov_b32 s23, 0
	s_cbranch_execnz .LBB6_334
.LBB6_333:                              ;   in Loop: Header=BB6_303 Depth=1
	global_load_dwordx2 v[16:17], v28, s[4:5]
	s_add_i32 s23, s22, -8
	s_add_u32 s4, s4, 8
	s_addc_u32 s5, s5, 0
.LBB6_334:                              ;   in Loop: Header=BB6_303 Depth=1
	s_cmp_gt_u32 s23, 7
	s_cbranch_scc1 .LBB6_338
; %bb.335:                              ;   in Loop: Header=BB6_303 Depth=1
	s_cmp_eq_u32 s23, 0
	s_cbranch_scc1 .LBB6_339
; %bb.336:                              ;   in Loop: Header=BB6_303 Depth=1
	v_mov_b32_e32 v18, 0
	s_mov_b64 s[18:19], 0
	v_mov_b32_e32 v19, 0
	s_mov_b64 s[20:21], 0
.LBB6_337:                              ;   Parent Loop BB6_303 Depth=1
                                        ; =>  This Inner Loop Header: Depth=2
	s_add_u32 s24, s4, s20
	s_addc_u32 s25, s5, s21
	global_load_ubyte v4, v28, s[24:25]
	s_add_u32 s20, s20, 1
	s_addc_u32 s21, s21, 0
	s_waitcnt vmcnt(0)
	v_and_b32_e32 v27, 0xffff, v4
	v_lshlrev_b64 v[4:5], s18, v[27:28]
	s_add_u32 s18, s18, 8
	s_addc_u32 s19, s19, 0
	v_or_b32_e32 v18, v4, v18
	s_cmp_lg_u32 s23, s20
	v_or_b32_e32 v19, v5, v19
	s_cbranch_scc1 .LBB6_337
	s_branch .LBB6_340
.LBB6_338:                              ;   in Loop: Header=BB6_303 Depth=1
                                        ; implicit-def: $sgpr22
	s_branch .LBB6_341
.LBB6_339:                              ;   in Loop: Header=BB6_303 Depth=1
	v_mov_b32_e32 v18, 0
	v_mov_b32_e32 v19, 0
.LBB6_340:                              ;   in Loop: Header=BB6_303 Depth=1
	s_mov_b32 s22, 0
	s_cbranch_execnz .LBB6_342
.LBB6_341:                              ;   in Loop: Header=BB6_303 Depth=1
	global_load_dwordx2 v[18:19], v28, s[4:5]
	s_add_i32 s22, s23, -8
	s_add_u32 s4, s4, 8
	s_addc_u32 s5, s5, 0
.LBB6_342:                              ;   in Loop: Header=BB6_303 Depth=1
	s_cmp_gt_u32 s22, 7
	s_cbranch_scc1 .LBB6_346
; %bb.343:                              ;   in Loop: Header=BB6_303 Depth=1
	s_cmp_eq_u32 s22, 0
	s_cbranch_scc1 .LBB6_347
; %bb.344:                              ;   in Loop: Header=BB6_303 Depth=1
	v_mov_b32_e32 v20, 0
	s_mov_b64 s[18:19], 0
	v_mov_b32_e32 v21, 0
	s_mov_b64 s[20:21], 0
.LBB6_345:                              ;   Parent Loop BB6_303 Depth=1
                                        ; =>  This Inner Loop Header: Depth=2
	s_add_u32 s24, s4, s20
	s_addc_u32 s25, s5, s21
	global_load_ubyte v4, v28, s[24:25]
	s_add_u32 s20, s20, 1
	s_addc_u32 s21, s21, 0
	s_waitcnt vmcnt(0)
	v_and_b32_e32 v27, 0xffff, v4
	v_lshlrev_b64 v[4:5], s18, v[27:28]
	s_add_u32 s18, s18, 8
	s_addc_u32 s19, s19, 0
	v_or_b32_e32 v20, v4, v20
	s_cmp_lg_u32 s22, s20
	v_or_b32_e32 v21, v5, v21
	s_cbranch_scc1 .LBB6_345
	s_branch .LBB6_348
.LBB6_346:                              ;   in Loop: Header=BB6_303 Depth=1
                                        ; implicit-def: $vgpr20_vgpr21
                                        ; implicit-def: $sgpr23
	s_branch .LBB6_349
.LBB6_347:                              ;   in Loop: Header=BB6_303 Depth=1
	v_mov_b32_e32 v20, 0
	v_mov_b32_e32 v21, 0
.LBB6_348:                              ;   in Loop: Header=BB6_303 Depth=1
	s_mov_b32 s23, 0
	s_cbranch_execnz .LBB6_350
.LBB6_349:                              ;   in Loop: Header=BB6_303 Depth=1
	global_load_dwordx2 v[20:21], v28, s[4:5]
	s_add_i32 s23, s22, -8
	s_add_u32 s4, s4, 8
	s_addc_u32 s5, s5, 0
.LBB6_350:                              ;   in Loop: Header=BB6_303 Depth=1
	s_cmp_gt_u32 s23, 7
	s_cbranch_scc1 .LBB6_354
; %bb.351:                              ;   in Loop: Header=BB6_303 Depth=1
	s_cmp_eq_u32 s23, 0
	s_cbranch_scc1 .LBB6_355
; %bb.352:                              ;   in Loop: Header=BB6_303 Depth=1
	v_mov_b32_e32 v22, 0
	s_mov_b64 s[18:19], 0
	v_mov_b32_e32 v23, 0
	s_mov_b64 s[20:21], s[4:5]
.LBB6_353:                              ;   Parent Loop BB6_303 Depth=1
                                        ; =>  This Inner Loop Header: Depth=2
	global_load_ubyte v4, v28, s[20:21]
	s_add_i32 s23, s23, -1
	s_waitcnt vmcnt(0)
	v_and_b32_e32 v27, 0xffff, v4
	v_lshlrev_b64 v[4:5], s18, v[27:28]
	s_add_u32 s18, s18, 8
	s_addc_u32 s19, s19, 0
	s_add_u32 s20, s20, 1
	s_addc_u32 s21, s21, 0
	v_or_b32_e32 v22, v4, v22
	s_cmp_lg_u32 s23, 0
	v_or_b32_e32 v23, v5, v23
	s_cbranch_scc1 .LBB6_353
	s_branch .LBB6_356
.LBB6_354:                              ;   in Loop: Header=BB6_303 Depth=1
	s_branch .LBB6_357
.LBB6_355:                              ;   in Loop: Header=BB6_303 Depth=1
	v_mov_b32_e32 v22, 0
	v_mov_b32_e32 v23, 0
.LBB6_356:                              ;   in Loop: Header=BB6_303 Depth=1
	s_cbranch_execnz .LBB6_358
.LBB6_357:                              ;   in Loop: Header=BB6_303 Depth=1
	global_load_dwordx2 v[22:23], v28, s[4:5]
.LBB6_358:                              ;   in Loop: Header=BB6_303 Depth=1
	v_readfirstlane_b32 s4, v32
	s_waitcnt vmcnt(0)
	v_mov_b32_e32 v4, 0
	v_mov_b32_e32 v5, 0
	v_cmp_eq_u32_e64 s[4:5], s4, v32
	s_and_saveexec_b64 s[18:19], s[4:5]
	s_cbranch_execz .LBB6_364
; %bb.359:                              ;   in Loop: Header=BB6_303 Depth=1
	global_load_dwordx2 v[26:27], v28, s[6:7] offset:24 glc
	s_waitcnt vmcnt(0)
	buffer_wbinvl1_vol
	global_load_dwordx2 v[4:5], v28, s[6:7] offset:40
	global_load_dwordx2 v[8:9], v28, s[6:7]
	s_waitcnt vmcnt(1)
	v_and_b32_e32 v4, v4, v26
	v_and_b32_e32 v5, v5, v27
	v_mul_lo_u32 v5, v5, 24
	v_mul_hi_u32 v24, v4, 24
	v_mul_lo_u32 v4, v4, 24
	v_add_u32_e32 v5, v24, v5
	s_waitcnt vmcnt(0)
	v_add_co_u32_e32 v4, vcc, v8, v4
	v_addc_co_u32_e32 v5, vcc, v9, v5, vcc
	global_load_dwordx2 v[24:25], v[4:5], off glc
	s_waitcnt vmcnt(0)
	global_atomic_cmpswap_x2 v[4:5], v28, v[24:27], s[6:7] offset:24 glc
	s_waitcnt vmcnt(0)
	buffer_wbinvl1_vol
	v_cmp_ne_u64_e32 vcc, v[4:5], v[26:27]
	s_and_saveexec_b64 s[20:21], vcc
	s_cbranch_execz .LBB6_363
; %bb.360:                              ;   in Loop: Header=BB6_303 Depth=1
	s_mov_b64 s[22:23], 0
.LBB6_361:                              ;   Parent Loop BB6_303 Depth=1
                                        ; =>  This Inner Loop Header: Depth=2
	s_sleep 1
	global_load_dwordx2 v[8:9], v28, s[6:7] offset:40
	global_load_dwordx2 v[24:25], v28, s[6:7]
	v_mov_b32_e32 v27, v5
	v_mov_b32_e32 v26, v4
	s_waitcnt vmcnt(1)
	v_and_b32_e32 v4, v8, v26
	s_waitcnt vmcnt(0)
	v_mad_u64_u32 v[4:5], s[24:25], v4, 24, v[24:25]
	v_and_b32_e32 v8, v9, v27
	v_mad_u64_u32 v[8:9], s[24:25], v8, 24, v[5:6]
	v_mov_b32_e32 v5, v8
	global_load_dwordx2 v[24:25], v[4:5], off glc
	s_waitcnt vmcnt(0)
	global_atomic_cmpswap_x2 v[4:5], v28, v[24:27], s[6:7] offset:24 glc
	s_waitcnt vmcnt(0)
	buffer_wbinvl1_vol
	v_cmp_eq_u64_e32 vcc, v[4:5], v[26:27]
	s_or_b64 s[22:23], vcc, s[22:23]
	s_andn2_b64 exec, exec, s[22:23]
	s_cbranch_execnz .LBB6_361
; %bb.362:                              ;   in Loop: Header=BB6_303 Depth=1
	s_or_b64 exec, exec, s[22:23]
.LBB6_363:                              ;   in Loop: Header=BB6_303 Depth=1
	s_or_b64 exec, exec, s[20:21]
.LBB6_364:                              ;   in Loop: Header=BB6_303 Depth=1
	s_or_b64 exec, exec, s[18:19]
	global_load_dwordx2 v[8:9], v28, s[6:7] offset:40
	global_load_dwordx4 v[24:27], v28, s[6:7]
	v_readfirstlane_b32 s18, v4
	v_readfirstlane_b32 s19, v5
	s_mov_b64 s[22:23], exec
	s_waitcnt vmcnt(1)
	v_readfirstlane_b32 s20, v8
	v_readfirstlane_b32 s21, v9
	s_and_b64 s[20:21], s[18:19], s[20:21]
	s_mul_i32 s24, s21, 24
	s_mul_hi_u32 s25, s20, 24
	s_mul_i32 s26, s20, 24
	s_add_i32 s24, s25, s24
	v_mov_b32_e32 v4, s24
	s_waitcnt vmcnt(0)
	v_add_co_u32_e32 v29, vcc, s26, v24
	v_addc_co_u32_e32 v30, vcc, v25, v4, vcc
	s_and_saveexec_b64 s[24:25], s[4:5]
	s_cbranch_execz .LBB6_366
; %bb.365:                              ;   in Loop: Header=BB6_303 Depth=1
	v_mov_b32_e32 v4, s22
	v_mov_b32_e32 v5, s23
	global_store_dwordx4 v[29:30], v[4:7], off offset:8
.LBB6_366:                              ;   in Loop: Header=BB6_303 Depth=1
	s_or_b64 exec, exec, s[24:25]
	v_cmp_gt_u64_e64 vcc, s[14:15], 56
	v_or_b32_e32 v4, 0, v3
	v_cndmask_b32_e32 v9, v4, v3, vcc
	v_or_b32_e32 v3, v2, v33
	s_lshl_b32 s22, s16, 2
	v_cndmask_b32_e32 v2, v3, v2, vcc
	s_add_i32 s22, s22, 28
	s_and_b32 s22, s22, 0x1e0
	v_and_b32_e32 v2, 0xffffff1f, v2
	s_lshl_b64 s[20:21], s[20:21], 12
	v_or_b32_e32 v8, s22, v2
	v_mov_b32_e32 v2, s21
	v_add_co_u32_e32 v26, vcc, s20, v26
	v_addc_co_u32_e32 v34, vcc, v27, v2, vcc
	v_readfirstlane_b32 s20, v26
	v_readfirstlane_b32 s21, v34
	s_nop 4
	global_store_dwordx4 v31, v[8:11], s[20:21]
	global_store_dwordx4 v31, v[12:15], s[20:21] offset:16
	global_store_dwordx4 v31, v[16:19], s[20:21] offset:32
	;; [unrolled: 1-line block ×3, first 2 shown]
	s_and_saveexec_b64 s[20:21], s[4:5]
	s_cbranch_execz .LBB6_374
; %bb.367:                              ;   in Loop: Header=BB6_303 Depth=1
	global_load_dwordx2 v[12:13], v28, s[6:7] offset:32 glc
	global_load_dwordx2 v[2:3], v28, s[6:7] offset:40
	v_mov_b32_e32 v10, s18
	v_mov_b32_e32 v11, s19
	s_waitcnt vmcnt(0)
	v_readfirstlane_b32 s22, v2
	v_readfirstlane_b32 s23, v3
	s_and_b64 s[22:23], s[22:23], s[18:19]
	s_mul_i32 s23, s23, 24
	s_mul_hi_u32 s24, s22, 24
	s_mul_i32 s22, s22, 24
	s_add_i32 s23, s24, s23
	v_mov_b32_e32 v2, s23
	v_add_co_u32_e32 v8, vcc, s22, v24
	v_addc_co_u32_e32 v9, vcc, v25, v2, vcc
	global_store_dwordx2 v[8:9], v[12:13], off
	s_waitcnt vmcnt(0)
	global_atomic_cmpswap_x2 v[4:5], v28, v[10:13], s[6:7] offset:32 glc
	s_waitcnt vmcnt(0)
	v_cmp_ne_u64_e32 vcc, v[4:5], v[12:13]
	s_and_saveexec_b64 s[22:23], vcc
	s_cbranch_execz .LBB6_370
; %bb.368:                              ;   in Loop: Header=BB6_303 Depth=1
	s_mov_b64 s[24:25], 0
.LBB6_369:                              ;   Parent Loop BB6_303 Depth=1
                                        ; =>  This Inner Loop Header: Depth=2
	s_sleep 1
	global_store_dwordx2 v[8:9], v[4:5], off
	v_mov_b32_e32 v2, s18
	v_mov_b32_e32 v3, s19
	s_waitcnt vmcnt(0)
	global_atomic_cmpswap_x2 v[2:3], v28, v[2:5], s[6:7] offset:32 glc
	s_waitcnt vmcnt(0)
	v_cmp_eq_u64_e32 vcc, v[2:3], v[4:5]
	v_mov_b32_e32 v5, v3
	s_or_b64 s[24:25], vcc, s[24:25]
	v_mov_b32_e32 v4, v2
	s_andn2_b64 exec, exec, s[24:25]
	s_cbranch_execnz .LBB6_369
.LBB6_370:                              ;   in Loop: Header=BB6_303 Depth=1
	s_or_b64 exec, exec, s[22:23]
	global_load_dwordx2 v[2:3], v28, s[6:7] offset:16
	s_mov_b64 s[24:25], exec
	v_mbcnt_lo_u32_b32 v4, s24, 0
	v_mbcnt_hi_u32_b32 v4, s25, v4
	v_cmp_eq_u32_e32 vcc, 0, v4
	s_and_saveexec_b64 s[22:23], vcc
	s_cbranch_execz .LBB6_372
; %bb.371:                              ;   in Loop: Header=BB6_303 Depth=1
	s_bcnt1_i32_b64 s24, s[24:25]
	v_mov_b32_e32 v27, s24
	s_waitcnt vmcnt(0)
	global_atomic_add_x2 v[2:3], v[27:28], off offset:8
.LBB6_372:                              ;   in Loop: Header=BB6_303 Depth=1
	s_or_b64 exec, exec, s[22:23]
	s_waitcnt vmcnt(0)
	global_load_dwordx2 v[4:5], v[2:3], off offset:16
	s_waitcnt vmcnt(0)
	v_cmp_eq_u64_e32 vcc, 0, v[4:5]
	s_cbranch_vccnz .LBB6_374
; %bb.373:                              ;   in Loop: Header=BB6_303 Depth=1
	global_load_dword v27, v[2:3], off offset:24
	s_waitcnt vmcnt(0)
	v_and_b32_e32 v2, 0xffffff, v27
	v_readfirstlane_b32 m0, v2
	global_store_dwordx2 v[4:5], v[27:28], off
	s_sendmsg sendmsg(MSG_INTERRUPT)
.LBB6_374:                              ;   in Loop: Header=BB6_303 Depth=1
	s_or_b64 exec, exec, s[20:21]
	v_add_co_u32_e32 v2, vcc, v26, v31
	v_addc_co_u32_e32 v3, vcc, 0, v34, vcc
	s_branch .LBB6_378
.LBB6_375:                              ;   in Loop: Header=BB6_378 Depth=2
	s_or_b64 exec, exec, s[20:21]
	v_readfirstlane_b32 s20, v4
	s_cmp_eq_u32 s20, 0
	s_cbranch_scc1 .LBB6_377
; %bb.376:                              ;   in Loop: Header=BB6_378 Depth=2
	s_sleep 1
	s_cbranch_execnz .LBB6_378
	s_branch .LBB6_380
.LBB6_377:                              ;   in Loop: Header=BB6_303 Depth=1
	s_branch .LBB6_380
.LBB6_378:                              ;   Parent Loop BB6_303 Depth=1
                                        ; =>  This Inner Loop Header: Depth=2
	v_mov_b32_e32 v4, 1
	s_and_saveexec_b64 s[20:21], s[4:5]
	s_cbranch_execz .LBB6_375
; %bb.379:                              ;   in Loop: Header=BB6_378 Depth=2
	global_load_dword v4, v[29:30], off offset:20 glc
	s_waitcnt vmcnt(0)
	buffer_wbinvl1_vol
	v_and_b32_e32 v4, 1, v4
	s_branch .LBB6_375
.LBB6_380:                              ;   in Loop: Header=BB6_303 Depth=1
	global_load_dwordx4 v[2:5], v[2:3], off
	s_and_saveexec_b64 s[20:21], s[4:5]
	s_cbranch_execz .LBB6_302
; %bb.381:                              ;   in Loop: Header=BB6_303 Depth=1
	global_load_dwordx2 v[4:5], v28, s[6:7] offset:40
	global_load_dwordx2 v[12:13], v28, s[6:7] offset:24 glc
	global_load_dwordx2 v[14:15], v28, s[6:7]
	v_mov_b32_e32 v9, s19
	s_waitcnt vmcnt(2)
	v_add_co_u32_e32 v10, vcc, 1, v4
	v_addc_co_u32_e32 v11, vcc, 0, v5, vcc
	v_add_co_u32_e32 v8, vcc, s18, v10
	v_addc_co_u32_e32 v9, vcc, v11, v9, vcc
	v_cmp_eq_u64_e32 vcc, 0, v[8:9]
	v_cndmask_b32_e32 v9, v9, v11, vcc
	v_cndmask_b32_e32 v8, v8, v10, vcc
	v_and_b32_e32 v5, v9, v5
	v_and_b32_e32 v4, v8, v4
	v_mul_lo_u32 v5, v5, 24
	v_mul_hi_u32 v11, v4, 24
	v_mul_lo_u32 v4, v4, 24
	s_waitcnt vmcnt(1)
	v_mov_b32_e32 v10, v12
	v_add_u32_e32 v5, v11, v5
	s_waitcnt vmcnt(0)
	v_add_co_u32_e32 v4, vcc, v14, v4
	v_addc_co_u32_e32 v5, vcc, v15, v5, vcc
	global_store_dwordx2 v[4:5], v[12:13], off
	v_mov_b32_e32 v11, v13
	s_waitcnt vmcnt(0)
	global_atomic_cmpswap_x2 v[10:11], v28, v[8:11], s[6:7] offset:24 glc
	s_waitcnt vmcnt(0)
	v_cmp_ne_u64_e32 vcc, v[10:11], v[12:13]
	s_and_b64 exec, exec, vcc
	s_cbranch_execz .LBB6_302
; %bb.382:                              ;   in Loop: Header=BB6_303 Depth=1
	s_mov_b64 s[4:5], 0
.LBB6_383:                              ;   Parent Loop BB6_303 Depth=1
                                        ; =>  This Inner Loop Header: Depth=2
	s_sleep 1
	global_store_dwordx2 v[4:5], v[10:11], off
	s_waitcnt vmcnt(0)
	global_atomic_cmpswap_x2 v[12:13], v28, v[8:11], s[6:7] offset:24 glc
	s_waitcnt vmcnt(0)
	v_cmp_eq_u64_e32 vcc, v[12:13], v[10:11]
	v_mov_b32_e32 v10, v12
	s_or_b64 s[4:5], vcc, s[4:5]
	v_mov_b32_e32 v11, v13
	s_andn2_b64 exec, exec, s[4:5]
	s_cbranch_execnz .LBB6_383
	s_branch .LBB6_302
.LBB6_384:
	s_branch .LBB6_412
.LBB6_385:
                                        ; implicit-def: $vgpr2_vgpr3
	s_cbranch_execz .LBB6_412
; %bb.386:
	v_readfirstlane_b32 s4, v32
	v_mov_b32_e32 v8, 0
	v_mov_b32_e32 v9, 0
	v_cmp_eq_u32_e64 s[4:5], s4, v32
	s_and_saveexec_b64 s[12:13], s[4:5]
	s_cbranch_execz .LBB6_392
; %bb.387:
	s_waitcnt vmcnt(0)
	v_mov_b32_e32 v2, 0
	global_load_dwordx2 v[5:6], v2, s[6:7] offset:24 glc
	s_waitcnt vmcnt(0)
	buffer_wbinvl1_vol
	global_load_dwordx2 v[3:4], v2, s[6:7] offset:40
	global_load_dwordx2 v[7:8], v2, s[6:7]
	s_waitcnt vmcnt(1)
	v_and_b32_e32 v3, v3, v5
	v_and_b32_e32 v4, v4, v6
	v_mul_lo_u32 v4, v4, 24
	v_mul_hi_u32 v9, v3, 24
	v_mul_lo_u32 v3, v3, 24
	v_add_u32_e32 v4, v9, v4
	s_waitcnt vmcnt(0)
	v_add_co_u32_e32 v3, vcc, v7, v3
	v_addc_co_u32_e32 v4, vcc, v8, v4, vcc
	global_load_dwordx2 v[3:4], v[3:4], off glc
	s_waitcnt vmcnt(0)
	global_atomic_cmpswap_x2 v[8:9], v2, v[3:6], s[6:7] offset:24 glc
	s_waitcnt vmcnt(0)
	buffer_wbinvl1_vol
	v_cmp_ne_u64_e32 vcc, v[8:9], v[5:6]
	s_and_saveexec_b64 s[14:15], vcc
	s_cbranch_execz .LBB6_391
; %bb.388:
	s_mov_b64 s[16:17], 0
.LBB6_389:                              ; =>This Inner Loop Header: Depth=1
	s_sleep 1
	global_load_dwordx2 v[3:4], v2, s[6:7] offset:40
	global_load_dwordx2 v[10:11], v2, s[6:7]
	v_mov_b32_e32 v5, v8
	v_mov_b32_e32 v6, v9
	s_waitcnt vmcnt(1)
	v_and_b32_e32 v3, v3, v5
	s_waitcnt vmcnt(0)
	v_mad_u64_u32 v[7:8], s[18:19], v3, 24, v[10:11]
	v_and_b32_e32 v4, v4, v6
	v_mov_b32_e32 v3, v8
	v_mad_u64_u32 v[3:4], s[18:19], v4, 24, v[3:4]
	v_mov_b32_e32 v8, v3
	global_load_dwordx2 v[3:4], v[7:8], off glc
	s_waitcnt vmcnt(0)
	global_atomic_cmpswap_x2 v[8:9], v2, v[3:6], s[6:7] offset:24 glc
	s_waitcnt vmcnt(0)
	buffer_wbinvl1_vol
	v_cmp_eq_u64_e32 vcc, v[8:9], v[5:6]
	s_or_b64 s[16:17], vcc, s[16:17]
	s_andn2_b64 exec, exec, s[16:17]
	s_cbranch_execnz .LBB6_389
; %bb.390:
	s_or_b64 exec, exec, s[16:17]
.LBB6_391:
	s_or_b64 exec, exec, s[14:15]
.LBB6_392:
	s_or_b64 exec, exec, s[12:13]
	s_waitcnt vmcnt(0)
	v_mov_b32_e32 v2, 0
	global_load_dwordx2 v[10:11], v2, s[6:7] offset:40
	global_load_dwordx4 v[4:7], v2, s[6:7]
	v_readfirstlane_b32 s12, v8
	v_readfirstlane_b32 s13, v9
	s_mov_b64 s[14:15], exec
	s_waitcnt vmcnt(1)
	v_readfirstlane_b32 s16, v10
	v_readfirstlane_b32 s17, v11
	s_and_b64 s[16:17], s[12:13], s[16:17]
	s_mul_i32 s18, s17, 24
	s_mul_hi_u32 s19, s16, 24
	s_mul_i32 s20, s16, 24
	s_add_i32 s18, s19, s18
	v_mov_b32_e32 v3, s18
	s_waitcnt vmcnt(0)
	v_add_co_u32_e32 v8, vcc, s20, v4
	v_addc_co_u32_e32 v9, vcc, v5, v3, vcc
	s_and_saveexec_b64 s[18:19], s[4:5]
	s_cbranch_execz .LBB6_394
; %bb.393:
	v_mov_b32_e32 v10, s14
	v_mov_b32_e32 v11, s15
	;; [unrolled: 1-line block ×4, first 2 shown]
	global_store_dwordx4 v[8:9], v[10:13], off offset:8
.LBB6_394:
	s_or_b64 exec, exec, s[18:19]
	s_lshl_b64 s[14:15], s[16:17], 12
	v_mov_b32_e32 v3, s15
	v_add_co_u32_e32 v10, vcc, s14, v6
	v_addc_co_u32_e32 v11, vcc, v7, v3, vcc
	s_movk_i32 s14, 0xff1f
	v_and_or_b32 v0, v0, s14, 32
	s_mov_b32 s16, 0
	v_mov_b32_e32 v3, v2
	v_readfirstlane_b32 s14, v10
	v_readfirstlane_b32 s15, v11
	v_add_co_u32_e32 v6, vcc, v10, v31
	s_mov_b32 s17, s16
	s_mov_b32 s18, s16
	;; [unrolled: 1-line block ×3, first 2 shown]
	s_nop 0
	global_store_dwordx4 v31, v[0:3], s[14:15]
	v_addc_co_u32_e32 v7, vcc, 0, v11, vcc
	v_mov_b32_e32 v0, s16
	v_mov_b32_e32 v1, s17
	;; [unrolled: 1-line block ×4, first 2 shown]
	global_store_dwordx4 v31, v[0:3], s[14:15] offset:16
	global_store_dwordx4 v31, v[0:3], s[14:15] offset:32
	;; [unrolled: 1-line block ×3, first 2 shown]
	s_and_saveexec_b64 s[14:15], s[4:5]
	s_cbranch_execz .LBB6_402
; %bb.395:
	v_mov_b32_e32 v10, 0
	global_load_dwordx2 v[13:14], v10, s[6:7] offset:32 glc
	global_load_dwordx2 v[0:1], v10, s[6:7] offset:40
	v_mov_b32_e32 v11, s12
	v_mov_b32_e32 v12, s13
	s_waitcnt vmcnt(0)
	v_readfirstlane_b32 s16, v0
	v_readfirstlane_b32 s17, v1
	s_and_b64 s[16:17], s[16:17], s[12:13]
	s_mul_i32 s17, s17, 24
	s_mul_hi_u32 s18, s16, 24
	s_mul_i32 s16, s16, 24
	s_add_i32 s17, s18, s17
	v_mov_b32_e32 v0, s17
	v_add_co_u32_e32 v4, vcc, s16, v4
	v_addc_co_u32_e32 v5, vcc, v5, v0, vcc
	global_store_dwordx2 v[4:5], v[13:14], off
	s_waitcnt vmcnt(0)
	global_atomic_cmpswap_x2 v[2:3], v10, v[11:14], s[6:7] offset:32 glc
	s_waitcnt vmcnt(0)
	v_cmp_ne_u64_e32 vcc, v[2:3], v[13:14]
	s_and_saveexec_b64 s[16:17], vcc
	s_cbranch_execz .LBB6_398
; %bb.396:
	s_mov_b64 s[18:19], 0
.LBB6_397:                              ; =>This Inner Loop Header: Depth=1
	s_sleep 1
	global_store_dwordx2 v[4:5], v[2:3], off
	v_mov_b32_e32 v0, s12
	v_mov_b32_e32 v1, s13
	s_waitcnt vmcnt(0)
	global_atomic_cmpswap_x2 v[0:1], v10, v[0:3], s[6:7] offset:32 glc
	s_waitcnt vmcnt(0)
	v_cmp_eq_u64_e32 vcc, v[0:1], v[2:3]
	v_mov_b32_e32 v3, v1
	s_or_b64 s[18:19], vcc, s[18:19]
	v_mov_b32_e32 v2, v0
	s_andn2_b64 exec, exec, s[18:19]
	s_cbranch_execnz .LBB6_397
.LBB6_398:
	s_or_b64 exec, exec, s[16:17]
	v_mov_b32_e32 v3, 0
	global_load_dwordx2 v[0:1], v3, s[6:7] offset:16
	s_mov_b64 s[16:17], exec
	v_mbcnt_lo_u32_b32 v2, s16, 0
	v_mbcnt_hi_u32_b32 v2, s17, v2
	v_cmp_eq_u32_e32 vcc, 0, v2
	s_and_saveexec_b64 s[18:19], vcc
	s_cbranch_execz .LBB6_400
; %bb.399:
	s_bcnt1_i32_b64 s16, s[16:17]
	v_mov_b32_e32 v2, s16
	s_waitcnt vmcnt(0)
	global_atomic_add_x2 v[0:1], v[2:3], off offset:8
.LBB6_400:
	s_or_b64 exec, exec, s[18:19]
	s_waitcnt vmcnt(0)
	global_load_dwordx2 v[2:3], v[0:1], off offset:16
	s_waitcnt vmcnt(0)
	v_cmp_eq_u64_e32 vcc, 0, v[2:3]
	s_cbranch_vccnz .LBB6_402
; %bb.401:
	global_load_dword v0, v[0:1], off offset:24
	v_mov_b32_e32 v1, 0
	s_waitcnt vmcnt(0)
	global_store_dwordx2 v[2:3], v[0:1], off
	v_and_b32_e32 v0, 0xffffff, v0
	v_readfirstlane_b32 m0, v0
	s_sendmsg sendmsg(MSG_INTERRUPT)
.LBB6_402:
	s_or_b64 exec, exec, s[14:15]
	s_branch .LBB6_406
.LBB6_403:                              ;   in Loop: Header=BB6_406 Depth=1
	s_or_b64 exec, exec, s[14:15]
	v_readfirstlane_b32 s14, v0
	s_cmp_eq_u32 s14, 0
	s_cbranch_scc1 .LBB6_405
; %bb.404:                              ;   in Loop: Header=BB6_406 Depth=1
	s_sleep 1
	s_cbranch_execnz .LBB6_406
	s_branch .LBB6_408
.LBB6_405:
	s_branch .LBB6_408
.LBB6_406:                              ; =>This Inner Loop Header: Depth=1
	v_mov_b32_e32 v0, 1
	s_and_saveexec_b64 s[14:15], s[4:5]
	s_cbranch_execz .LBB6_403
; %bb.407:                              ;   in Loop: Header=BB6_406 Depth=1
	global_load_dword v0, v[8:9], off offset:20 glc
	s_waitcnt vmcnt(0)
	buffer_wbinvl1_vol
	v_and_b32_e32 v0, 1, v0
	s_branch .LBB6_403
.LBB6_408:
	global_load_dwordx2 v[2:3], v[6:7], off
	s_and_saveexec_b64 s[14:15], s[4:5]
	s_cbranch_execz .LBB6_411
; %bb.409:
	v_mov_b32_e32 v8, 0
	global_load_dwordx2 v[0:1], v8, s[6:7] offset:40
	global_load_dwordx2 v[9:10], v8, s[6:7] offset:24 glc
	global_load_dwordx2 v[11:12], v8, s[6:7]
	v_mov_b32_e32 v5, s13
	s_mov_b64 s[4:5], 0
	s_waitcnt vmcnt(2)
	v_add_co_u32_e32 v6, vcc, 1, v0
	v_addc_co_u32_e32 v7, vcc, 0, v1, vcc
	v_add_co_u32_e32 v4, vcc, s12, v6
	v_addc_co_u32_e32 v5, vcc, v7, v5, vcc
	v_cmp_eq_u64_e32 vcc, 0, v[4:5]
	v_cndmask_b32_e32 v5, v5, v7, vcc
	v_cndmask_b32_e32 v4, v4, v6, vcc
	v_and_b32_e32 v1, v5, v1
	v_and_b32_e32 v0, v4, v0
	v_mul_lo_u32 v1, v1, 24
	v_mul_hi_u32 v7, v0, 24
	v_mul_lo_u32 v0, v0, 24
	s_waitcnt vmcnt(1)
	v_mov_b32_e32 v6, v9
	v_add_u32_e32 v1, v7, v1
	s_waitcnt vmcnt(0)
	v_add_co_u32_e32 v0, vcc, v11, v0
	v_addc_co_u32_e32 v1, vcc, v12, v1, vcc
	global_store_dwordx2 v[0:1], v[9:10], off
	v_mov_b32_e32 v7, v10
	s_waitcnt vmcnt(0)
	global_atomic_cmpswap_x2 v[6:7], v8, v[4:7], s[6:7] offset:24 glc
	s_waitcnt vmcnt(0)
	v_cmp_ne_u64_e32 vcc, v[6:7], v[9:10]
	s_and_b64 exec, exec, vcc
	s_cbranch_execz .LBB6_411
.LBB6_410:                              ; =>This Inner Loop Header: Depth=1
	s_sleep 1
	global_store_dwordx2 v[0:1], v[6:7], off
	s_waitcnt vmcnt(0)
	global_atomic_cmpswap_x2 v[9:10], v8, v[4:7], s[6:7] offset:24 glc
	s_waitcnt vmcnt(0)
	v_cmp_eq_u64_e32 vcc, v[9:10], v[6:7]
	v_mov_b32_e32 v6, v9
	s_or_b64 s[4:5], vcc, s[4:5]
	v_mov_b32_e32 v7, v10
	s_andn2_b64 exec, exec, s[4:5]
	s_cbranch_execnz .LBB6_410
.LBB6_411:
	s_or_b64 exec, exec, s[14:15]
.LBB6_412:
	v_readfirstlane_b32 s4, v32
	s_waitcnt vmcnt(0)
	v_mov_b32_e32 v0, 0
	v_mov_b32_e32 v1, 0
	v_cmp_eq_u32_e64 s[4:5], s4, v32
	s_and_saveexec_b64 s[12:13], s[4:5]
	s_cbranch_execz .LBB6_418
; %bb.413:
	v_mov_b32_e32 v4, 0
	global_load_dwordx2 v[7:8], v4, s[6:7] offset:24 glc
	s_waitcnt vmcnt(0)
	buffer_wbinvl1_vol
	global_load_dwordx2 v[0:1], v4, s[6:7] offset:40
	global_load_dwordx2 v[5:6], v4, s[6:7]
	s_waitcnt vmcnt(1)
	v_and_b32_e32 v0, v0, v7
	v_and_b32_e32 v1, v1, v8
	v_mul_lo_u32 v1, v1, 24
	v_mul_hi_u32 v9, v0, 24
	v_mul_lo_u32 v0, v0, 24
	v_add_u32_e32 v1, v9, v1
	s_waitcnt vmcnt(0)
	v_add_co_u32_e32 v0, vcc, v5, v0
	v_addc_co_u32_e32 v1, vcc, v6, v1, vcc
	global_load_dwordx2 v[5:6], v[0:1], off glc
	s_waitcnt vmcnt(0)
	global_atomic_cmpswap_x2 v[0:1], v4, v[5:8], s[6:7] offset:24 glc
	s_waitcnt vmcnt(0)
	buffer_wbinvl1_vol
	v_cmp_ne_u64_e32 vcc, v[0:1], v[7:8]
	s_and_saveexec_b64 s[14:15], vcc
	s_cbranch_execz .LBB6_417
; %bb.414:
	s_mov_b64 s[16:17], 0
.LBB6_415:                              ; =>This Inner Loop Header: Depth=1
	s_sleep 1
	global_load_dwordx2 v[5:6], v4, s[6:7] offset:40
	global_load_dwordx2 v[9:10], v4, s[6:7]
	v_mov_b32_e32 v8, v1
	v_mov_b32_e32 v7, v0
	s_waitcnt vmcnt(1)
	v_and_b32_e32 v0, v5, v7
	s_waitcnt vmcnt(0)
	v_mad_u64_u32 v[0:1], s[18:19], v0, 24, v[9:10]
	v_and_b32_e32 v5, v6, v8
	v_mad_u64_u32 v[5:6], s[18:19], v5, 24, v[1:2]
	v_mov_b32_e32 v1, v5
	global_load_dwordx2 v[5:6], v[0:1], off glc
	s_waitcnt vmcnt(0)
	global_atomic_cmpswap_x2 v[0:1], v4, v[5:8], s[6:7] offset:24 glc
	s_waitcnt vmcnt(0)
	buffer_wbinvl1_vol
	v_cmp_eq_u64_e32 vcc, v[0:1], v[7:8]
	s_or_b64 s[16:17], vcc, s[16:17]
	s_andn2_b64 exec, exec, s[16:17]
	s_cbranch_execnz .LBB6_415
; %bb.416:
	s_or_b64 exec, exec, s[16:17]
.LBB6_417:
	s_or_b64 exec, exec, s[14:15]
.LBB6_418:
	s_or_b64 exec, exec, s[12:13]
	v_mov_b32_e32 v5, 0
	global_load_dwordx2 v[10:11], v5, s[6:7] offset:40
	global_load_dwordx4 v[6:9], v5, s[6:7]
	v_readfirstlane_b32 s12, v0
	v_readfirstlane_b32 s13, v1
	s_mov_b64 s[14:15], exec
	s_waitcnt vmcnt(1)
	v_readfirstlane_b32 s16, v10
	v_readfirstlane_b32 s17, v11
	s_and_b64 s[16:17], s[12:13], s[16:17]
	s_mul_i32 s18, s17, 24
	s_mul_hi_u32 s19, s16, 24
	s_mul_i32 s20, s16, 24
	s_add_i32 s18, s19, s18
	v_mov_b32_e32 v0, s18
	s_waitcnt vmcnt(0)
	v_add_co_u32_e32 v10, vcc, s20, v6
	v_addc_co_u32_e32 v11, vcc, v7, v0, vcc
	s_and_saveexec_b64 s[18:19], s[4:5]
	s_cbranch_execz .LBB6_420
; %bb.419:
	v_mov_b32_e32 v12, s14
	v_mov_b32_e32 v13, s15
	;; [unrolled: 1-line block ×4, first 2 shown]
	global_store_dwordx4 v[10:11], v[12:15], off offset:8
.LBB6_420:
	s_or_b64 exec, exec, s[18:19]
	s_lshl_b64 s[14:15], s[16:17], 12
	v_mov_b32_e32 v0, s15
	v_add_co_u32_e32 v1, vcc, s14, v8
	v_addc_co_u32_e32 v0, vcc, v9, v0, vcc
	s_movk_i32 s14, 0xff1d
	v_and_or_b32 v2, v2, s14, 34
	s_mov_b32 s16, 0
	v_mov_b32_e32 v4, 10
	v_readfirstlane_b32 s14, v1
	v_readfirstlane_b32 s15, v0
	s_mov_b32 s17, s16
	s_mov_b32 s18, s16
	;; [unrolled: 1-line block ×3, first 2 shown]
	s_nop 1
	global_store_dwordx4 v31, v[2:5], s[14:15]
	v_mov_b32_e32 v0, s16
	v_mov_b32_e32 v1, s17
	;; [unrolled: 1-line block ×4, first 2 shown]
	global_store_dwordx4 v31, v[0:3], s[14:15] offset:16
	global_store_dwordx4 v31, v[0:3], s[14:15] offset:32
	;; [unrolled: 1-line block ×3, first 2 shown]
	s_and_saveexec_b64 s[14:15], s[4:5]
	s_cbranch_execz .LBB6_428
; %bb.421:
	v_mov_b32_e32 v8, 0
	global_load_dwordx2 v[14:15], v8, s[6:7] offset:32 glc
	global_load_dwordx2 v[0:1], v8, s[6:7] offset:40
	v_mov_b32_e32 v12, s12
	v_mov_b32_e32 v13, s13
	s_waitcnt vmcnt(0)
	v_readfirstlane_b32 s16, v0
	v_readfirstlane_b32 s17, v1
	s_and_b64 s[16:17], s[16:17], s[12:13]
	s_mul_i32 s17, s17, 24
	s_mul_hi_u32 s18, s16, 24
	s_mul_i32 s16, s16, 24
	s_add_i32 s17, s18, s17
	v_mov_b32_e32 v0, s17
	v_add_co_u32_e32 v4, vcc, s16, v6
	v_addc_co_u32_e32 v5, vcc, v7, v0, vcc
	global_store_dwordx2 v[4:5], v[14:15], off
	s_waitcnt vmcnt(0)
	global_atomic_cmpswap_x2 v[2:3], v8, v[12:15], s[6:7] offset:32 glc
	s_waitcnt vmcnt(0)
	v_cmp_ne_u64_e32 vcc, v[2:3], v[14:15]
	s_and_saveexec_b64 s[16:17], vcc
	s_cbranch_execz .LBB6_424
; %bb.422:
	s_mov_b64 s[18:19], 0
.LBB6_423:                              ; =>This Inner Loop Header: Depth=1
	s_sleep 1
	global_store_dwordx2 v[4:5], v[2:3], off
	v_mov_b32_e32 v0, s12
	v_mov_b32_e32 v1, s13
	s_waitcnt vmcnt(0)
	global_atomic_cmpswap_x2 v[0:1], v8, v[0:3], s[6:7] offset:32 glc
	s_waitcnt vmcnt(0)
	v_cmp_eq_u64_e32 vcc, v[0:1], v[2:3]
	v_mov_b32_e32 v3, v1
	s_or_b64 s[18:19], vcc, s[18:19]
	v_mov_b32_e32 v2, v0
	s_andn2_b64 exec, exec, s[18:19]
	s_cbranch_execnz .LBB6_423
.LBB6_424:
	s_or_b64 exec, exec, s[16:17]
	v_mov_b32_e32 v3, 0
	global_load_dwordx2 v[0:1], v3, s[6:7] offset:16
	s_mov_b64 s[16:17], exec
	v_mbcnt_lo_u32_b32 v2, s16, 0
	v_mbcnt_hi_u32_b32 v2, s17, v2
	v_cmp_eq_u32_e32 vcc, 0, v2
	s_and_saveexec_b64 s[18:19], vcc
	s_cbranch_execz .LBB6_426
; %bb.425:
	s_bcnt1_i32_b64 s16, s[16:17]
	v_mov_b32_e32 v2, s16
	s_waitcnt vmcnt(0)
	global_atomic_add_x2 v[0:1], v[2:3], off offset:8
.LBB6_426:
	s_or_b64 exec, exec, s[18:19]
	s_waitcnt vmcnt(0)
	global_load_dwordx2 v[2:3], v[0:1], off offset:16
	s_waitcnt vmcnt(0)
	v_cmp_eq_u64_e32 vcc, 0, v[2:3]
	s_cbranch_vccnz .LBB6_428
; %bb.427:
	global_load_dword v0, v[0:1], off offset:24
	v_mov_b32_e32 v1, 0
	s_waitcnt vmcnt(0)
	global_store_dwordx2 v[2:3], v[0:1], off
	v_and_b32_e32 v0, 0xffffff, v0
	v_readfirstlane_b32 m0, v0
	s_sendmsg sendmsg(MSG_INTERRUPT)
.LBB6_428:
	s_or_b64 exec, exec, s[14:15]
	s_branch .LBB6_432
.LBB6_429:                              ;   in Loop: Header=BB6_432 Depth=1
	s_or_b64 exec, exec, s[14:15]
	v_readfirstlane_b32 s14, v0
	s_cmp_eq_u32 s14, 0
	s_cbranch_scc1 .LBB6_431
; %bb.430:                              ;   in Loop: Header=BB6_432 Depth=1
	s_sleep 1
	s_cbranch_execnz .LBB6_432
	s_branch .LBB6_434
.LBB6_431:
	s_branch .LBB6_434
.LBB6_432:                              ; =>This Inner Loop Header: Depth=1
	v_mov_b32_e32 v0, 1
	s_and_saveexec_b64 s[14:15], s[4:5]
	s_cbranch_execz .LBB6_429
; %bb.433:                              ;   in Loop: Header=BB6_432 Depth=1
	global_load_dword v0, v[10:11], off offset:20 glc
	s_waitcnt vmcnt(0)
	buffer_wbinvl1_vol
	v_and_b32_e32 v0, 1, v0
	s_branch .LBB6_429
.LBB6_434:
	s_and_saveexec_b64 s[14:15], s[4:5]
	s_cbranch_execz .LBB6_437
; %bb.435:
	v_mov_b32_e32 v6, 0
	global_load_dwordx2 v[2:3], v6, s[6:7] offset:40
	global_load_dwordx2 v[7:8], v6, s[6:7] offset:24 glc
	global_load_dwordx2 v[4:5], v6, s[6:7]
	v_mov_b32_e32 v1, s13
	s_mov_b64 s[4:5], 0
	s_waitcnt vmcnt(2)
	v_add_co_u32_e32 v9, vcc, 1, v2
	v_addc_co_u32_e32 v10, vcc, 0, v3, vcc
	v_add_co_u32_e32 v0, vcc, s12, v9
	v_addc_co_u32_e32 v1, vcc, v10, v1, vcc
	v_cmp_eq_u64_e32 vcc, 0, v[0:1]
	v_cndmask_b32_e32 v1, v1, v10, vcc
	v_cndmask_b32_e32 v0, v0, v9, vcc
	v_and_b32_e32 v3, v1, v3
	v_and_b32_e32 v2, v0, v2
	v_mul_lo_u32 v3, v3, 24
	v_mul_hi_u32 v9, v2, 24
	v_mul_lo_u32 v10, v2, 24
	s_waitcnt vmcnt(1)
	v_mov_b32_e32 v2, v7
	v_add_u32_e32 v3, v9, v3
	s_waitcnt vmcnt(0)
	v_add_co_u32_e32 v4, vcc, v4, v10
	v_addc_co_u32_e32 v5, vcc, v5, v3, vcc
	global_store_dwordx2 v[4:5], v[7:8], off
	v_mov_b32_e32 v3, v8
	s_waitcnt vmcnt(0)
	global_atomic_cmpswap_x2 v[2:3], v6, v[0:3], s[6:7] offset:24 glc
	s_waitcnt vmcnt(0)
	v_cmp_ne_u64_e32 vcc, v[2:3], v[7:8]
	s_and_b64 exec, exec, vcc
	s_cbranch_execz .LBB6_437
.LBB6_436:                              ; =>This Inner Loop Header: Depth=1
	s_sleep 1
	global_store_dwordx2 v[4:5], v[2:3], off
	s_waitcnt vmcnt(0)
	global_atomic_cmpswap_x2 v[7:8], v6, v[0:3], s[6:7] offset:24 glc
	s_waitcnt vmcnt(0)
	v_cmp_eq_u64_e32 vcc, v[7:8], v[2:3]
	v_mov_b32_e32 v2, v7
	s_or_b64 s[4:5], vcc, s[4:5]
	v_mov_b32_e32 v3, v8
	s_andn2_b64 exec, exec, s[4:5]
	s_cbranch_execnz .LBB6_436
.LBB6_437:
	s_or_b64 exec, exec, s[14:15]
	v_readfirstlane_b32 s4, v32
	v_mov_b32_e32 v5, 0
	v_mov_b32_e32 v6, 0
	v_cmp_eq_u32_e64 s[4:5], s4, v32
	s_and_saveexec_b64 s[12:13], s[4:5]
	s_cbranch_execz .LBB6_443
; %bb.438:
	v_mov_b32_e32 v0, 0
	global_load_dwordx2 v[3:4], v0, s[6:7] offset:24 glc
	s_waitcnt vmcnt(0)
	buffer_wbinvl1_vol
	global_load_dwordx2 v[1:2], v0, s[6:7] offset:40
	global_load_dwordx2 v[5:6], v0, s[6:7]
	s_waitcnt vmcnt(1)
	v_and_b32_e32 v1, v1, v3
	v_and_b32_e32 v2, v2, v4
	v_mul_lo_u32 v2, v2, 24
	v_mul_hi_u32 v7, v1, 24
	v_mul_lo_u32 v1, v1, 24
	v_add_u32_e32 v2, v7, v2
	s_waitcnt vmcnt(0)
	v_add_co_u32_e32 v1, vcc, v5, v1
	v_addc_co_u32_e32 v2, vcc, v6, v2, vcc
	global_load_dwordx2 v[1:2], v[1:2], off glc
	s_waitcnt vmcnt(0)
	global_atomic_cmpswap_x2 v[5:6], v0, v[1:4], s[6:7] offset:24 glc
	s_waitcnt vmcnt(0)
	buffer_wbinvl1_vol
	v_cmp_ne_u64_e32 vcc, v[5:6], v[3:4]
	s_and_saveexec_b64 s[14:15], vcc
	s_cbranch_execz .LBB6_442
; %bb.439:
	s_mov_b64 s[16:17], 0
.LBB6_440:                              ; =>This Inner Loop Header: Depth=1
	s_sleep 1
	global_load_dwordx2 v[1:2], v0, s[6:7] offset:40
	global_load_dwordx2 v[7:8], v0, s[6:7]
	v_mov_b32_e32 v3, v5
	v_mov_b32_e32 v4, v6
	s_waitcnt vmcnt(1)
	v_and_b32_e32 v1, v1, v3
	s_waitcnt vmcnt(0)
	v_mad_u64_u32 v[5:6], s[18:19], v1, 24, v[7:8]
	v_and_b32_e32 v2, v2, v4
	v_mov_b32_e32 v1, v6
	v_mad_u64_u32 v[1:2], s[18:19], v2, 24, v[1:2]
	v_mov_b32_e32 v6, v1
	global_load_dwordx2 v[1:2], v[5:6], off glc
	s_waitcnt vmcnt(0)
	global_atomic_cmpswap_x2 v[5:6], v0, v[1:4], s[6:7] offset:24 glc
	s_waitcnt vmcnt(0)
	buffer_wbinvl1_vol
	v_cmp_eq_u64_e32 vcc, v[5:6], v[3:4]
	s_or_b64 s[16:17], vcc, s[16:17]
	s_andn2_b64 exec, exec, s[16:17]
	s_cbranch_execnz .LBB6_440
; %bb.441:
	s_or_b64 exec, exec, s[16:17]
.LBB6_442:
	s_or_b64 exec, exec, s[14:15]
.LBB6_443:
	s_or_b64 exec, exec, s[12:13]
	v_mov_b32_e32 v4, 0
	global_load_dwordx2 v[7:8], v4, s[6:7] offset:40
	global_load_dwordx4 v[0:3], v4, s[6:7]
	v_readfirstlane_b32 s12, v5
	v_readfirstlane_b32 s13, v6
	s_mov_b64 s[14:15], exec
	s_waitcnt vmcnt(1)
	v_readfirstlane_b32 s16, v7
	v_readfirstlane_b32 s17, v8
	s_and_b64 s[16:17], s[12:13], s[16:17]
	s_mul_i32 s18, s17, 24
	s_mul_hi_u32 s19, s16, 24
	s_mul_i32 s20, s16, 24
	s_add_i32 s18, s19, s18
	v_mov_b32_e32 v5, s18
	s_waitcnt vmcnt(0)
	v_add_co_u32_e32 v7, vcc, s20, v0
	v_addc_co_u32_e32 v8, vcc, v1, v5, vcc
	s_and_saveexec_b64 s[18:19], s[4:5]
	s_cbranch_execz .LBB6_445
; %bb.444:
	v_mov_b32_e32 v9, s14
	v_mov_b32_e32 v10, s15
	;; [unrolled: 1-line block ×4, first 2 shown]
	global_store_dwordx4 v[7:8], v[9:12], off offset:8
.LBB6_445:
	s_or_b64 exec, exec, s[18:19]
	s_lshl_b64 s[14:15], s[16:17], 12
	v_mov_b32_e32 v5, s15
	v_add_co_u32_e32 v2, vcc, s14, v2
	v_addc_co_u32_e32 v11, vcc, v3, v5, vcc
	s_mov_b32 s16, 0
	v_mov_b32_e32 v3, 33
	v_mov_b32_e32 v5, v4
	;; [unrolled: 1-line block ×3, first 2 shown]
	v_readfirstlane_b32 s14, v2
	v_readfirstlane_b32 s15, v11
	v_add_co_u32_e32 v9, vcc, v2, v31
	s_mov_b32 s17, s16
	s_mov_b32 s18, s16
	;; [unrolled: 1-line block ×3, first 2 shown]
	s_nop 0
	global_store_dwordx4 v31, v[3:6], s[14:15]
	v_mov_b32_e32 v2, s16
	v_addc_co_u32_e32 v10, vcc, 0, v11, vcc
	v_mov_b32_e32 v3, s17
	v_mov_b32_e32 v4, s18
	;; [unrolled: 1-line block ×3, first 2 shown]
	global_store_dwordx4 v31, v[2:5], s[14:15] offset:16
	global_store_dwordx4 v31, v[2:5], s[14:15] offset:32
	;; [unrolled: 1-line block ×3, first 2 shown]
	s_and_saveexec_b64 s[14:15], s[4:5]
	s_cbranch_execz .LBB6_453
; %bb.446:
	v_mov_b32_e32 v6, 0
	global_load_dwordx2 v[13:14], v6, s[6:7] offset:32 glc
	global_load_dwordx2 v[2:3], v6, s[6:7] offset:40
	v_mov_b32_e32 v11, s12
	v_mov_b32_e32 v12, s13
	s_waitcnt vmcnt(0)
	v_readfirstlane_b32 s16, v2
	v_readfirstlane_b32 s17, v3
	s_and_b64 s[16:17], s[16:17], s[12:13]
	s_mul_i32 s17, s17, 24
	s_mul_hi_u32 s18, s16, 24
	s_mul_i32 s16, s16, 24
	s_add_i32 s17, s18, s17
	v_mov_b32_e32 v2, s17
	v_add_co_u32_e32 v4, vcc, s16, v0
	v_addc_co_u32_e32 v5, vcc, v1, v2, vcc
	global_store_dwordx2 v[4:5], v[13:14], off
	s_waitcnt vmcnt(0)
	global_atomic_cmpswap_x2 v[2:3], v6, v[11:14], s[6:7] offset:32 glc
	s_waitcnt vmcnt(0)
	v_cmp_ne_u64_e32 vcc, v[2:3], v[13:14]
	s_and_saveexec_b64 s[16:17], vcc
	s_cbranch_execz .LBB6_449
; %bb.447:
	s_mov_b64 s[18:19], 0
.LBB6_448:                              ; =>This Inner Loop Header: Depth=1
	s_sleep 1
	global_store_dwordx2 v[4:5], v[2:3], off
	v_mov_b32_e32 v0, s12
	v_mov_b32_e32 v1, s13
	s_waitcnt vmcnt(0)
	global_atomic_cmpswap_x2 v[0:1], v6, v[0:3], s[6:7] offset:32 glc
	s_waitcnt vmcnt(0)
	v_cmp_eq_u64_e32 vcc, v[0:1], v[2:3]
	v_mov_b32_e32 v3, v1
	s_or_b64 s[18:19], vcc, s[18:19]
	v_mov_b32_e32 v2, v0
	s_andn2_b64 exec, exec, s[18:19]
	s_cbranch_execnz .LBB6_448
.LBB6_449:
	s_or_b64 exec, exec, s[16:17]
	v_mov_b32_e32 v3, 0
	global_load_dwordx2 v[0:1], v3, s[6:7] offset:16
	s_mov_b64 s[16:17], exec
	v_mbcnt_lo_u32_b32 v2, s16, 0
	v_mbcnt_hi_u32_b32 v2, s17, v2
	v_cmp_eq_u32_e32 vcc, 0, v2
	s_and_saveexec_b64 s[18:19], vcc
	s_cbranch_execz .LBB6_451
; %bb.450:
	s_bcnt1_i32_b64 s16, s[16:17]
	v_mov_b32_e32 v2, s16
	s_waitcnt vmcnt(0)
	global_atomic_add_x2 v[0:1], v[2:3], off offset:8
.LBB6_451:
	s_or_b64 exec, exec, s[18:19]
	s_waitcnt vmcnt(0)
	global_load_dwordx2 v[2:3], v[0:1], off offset:16
	s_waitcnt vmcnt(0)
	v_cmp_eq_u64_e32 vcc, 0, v[2:3]
	s_cbranch_vccnz .LBB6_453
; %bb.452:
	global_load_dword v0, v[0:1], off offset:24
	v_mov_b32_e32 v1, 0
	s_waitcnt vmcnt(0)
	global_store_dwordx2 v[2:3], v[0:1], off
	v_and_b32_e32 v0, 0xffffff, v0
	v_readfirstlane_b32 m0, v0
	s_sendmsg sendmsg(MSG_INTERRUPT)
.LBB6_453:
	s_or_b64 exec, exec, s[14:15]
	s_branch .LBB6_457
.LBB6_454:                              ;   in Loop: Header=BB6_457 Depth=1
	s_or_b64 exec, exec, s[14:15]
	v_readfirstlane_b32 s14, v0
	s_cmp_eq_u32 s14, 0
	s_cbranch_scc1 .LBB6_456
; %bb.455:                              ;   in Loop: Header=BB6_457 Depth=1
	s_sleep 1
	s_cbranch_execnz .LBB6_457
	s_branch .LBB6_459
.LBB6_456:
	s_branch .LBB6_459
.LBB6_457:                              ; =>This Inner Loop Header: Depth=1
	v_mov_b32_e32 v0, 1
	s_and_saveexec_b64 s[14:15], s[4:5]
	s_cbranch_execz .LBB6_454
; %bb.458:                              ;   in Loop: Header=BB6_457 Depth=1
	global_load_dword v0, v[7:8], off offset:20 glc
	s_waitcnt vmcnt(0)
	buffer_wbinvl1_vol
	v_and_b32_e32 v0, 1, v0
	s_branch .LBB6_454
.LBB6_459:
	global_load_dwordx2 v[4:5], v[9:10], off
	s_and_saveexec_b64 s[14:15], s[4:5]
	s_cbranch_execz .LBB6_462
; %bb.460:
	v_mov_b32_e32 v8, 0
	global_load_dwordx2 v[2:3], v8, s[6:7] offset:40
	global_load_dwordx2 v[9:10], v8, s[6:7] offset:24 glc
	global_load_dwordx2 v[6:7], v8, s[6:7]
	v_mov_b32_e32 v1, s13
	s_mov_b64 s[4:5], 0
	s_waitcnt vmcnt(2)
	v_add_co_u32_e32 v11, vcc, 1, v2
	v_addc_co_u32_e32 v12, vcc, 0, v3, vcc
	v_add_co_u32_e32 v0, vcc, s12, v11
	v_addc_co_u32_e32 v1, vcc, v12, v1, vcc
	v_cmp_eq_u64_e32 vcc, 0, v[0:1]
	v_cndmask_b32_e32 v1, v1, v12, vcc
	v_cndmask_b32_e32 v0, v0, v11, vcc
	v_and_b32_e32 v3, v1, v3
	v_and_b32_e32 v2, v0, v2
	v_mul_lo_u32 v3, v3, 24
	v_mul_hi_u32 v11, v2, 24
	v_mul_lo_u32 v12, v2, 24
	s_waitcnt vmcnt(1)
	v_mov_b32_e32 v2, v9
	v_add_u32_e32 v3, v11, v3
	s_waitcnt vmcnt(0)
	v_add_co_u32_e32 v6, vcc, v6, v12
	v_addc_co_u32_e32 v7, vcc, v7, v3, vcc
	global_store_dwordx2 v[6:7], v[9:10], off
	v_mov_b32_e32 v3, v10
	s_waitcnt vmcnt(0)
	global_atomic_cmpswap_x2 v[2:3], v8, v[0:3], s[6:7] offset:24 glc
	s_waitcnt vmcnt(0)
	v_cmp_ne_u64_e32 vcc, v[2:3], v[9:10]
	s_and_b64 exec, exec, vcc
	s_cbranch_execz .LBB6_462
.LBB6_461:                              ; =>This Inner Loop Header: Depth=1
	s_sleep 1
	global_store_dwordx2 v[6:7], v[2:3], off
	s_waitcnt vmcnt(0)
	global_atomic_cmpswap_x2 v[9:10], v8, v[0:3], s[6:7] offset:24 glc
	s_waitcnt vmcnt(0)
	v_cmp_eq_u64_e32 vcc, v[9:10], v[2:3]
	v_mov_b32_e32 v2, v9
	s_or_b64 s[4:5], vcc, s[4:5]
	v_mov_b32_e32 v3, v10
	s_andn2_b64 exec, exec, s[4:5]
	s_cbranch_execnz .LBB6_461
.LBB6_462:
	s_or_b64 exec, exec, s[14:15]
	s_and_b64 vcc, exec, s[8:9]
	s_cbranch_vccz .LBB6_547
; %bb.463:
	s_waitcnt vmcnt(0)
	v_and_b32_e32 v29, 2, v4
	v_mov_b32_e32 v26, 0
	v_and_b32_e32 v0, -3, v4
	v_mov_b32_e32 v1, v5
	s_mov_b64 s[14:15], 3
	v_mov_b32_e32 v8, 2
	v_mov_b32_e32 v9, 1
	s_getpc_b64 s[12:13]
	s_add_u32 s12, s12, .str.5@rel32@lo+4
	s_addc_u32 s13, s13, .str.5@rel32@hi+12
	s_branch .LBB6_465
.LBB6_464:                              ;   in Loop: Header=BB6_465 Depth=1
	s_or_b64 exec, exec, s[20:21]
	s_sub_u32 s14, s14, s16
	s_subb_u32 s15, s15, s17
	s_add_u32 s12, s12, s16
	s_addc_u32 s13, s13, s17
	s_cmp_lg_u64 s[14:15], 0
	s_cbranch_scc0 .LBB6_546
.LBB6_465:                              ; =>This Loop Header: Depth=1
                                        ;     Child Loop BB6_468 Depth 2
                                        ;     Child Loop BB6_475 Depth 2
	;; [unrolled: 1-line block ×11, first 2 shown]
	v_cmp_lt_u64_e64 s[4:5], s[14:15], 56
	v_cmp_gt_u64_e64 s[18:19], s[14:15], 7
	s_and_b64 s[4:5], s[4:5], exec
	s_cselect_b32 s17, s15, 0
	s_cselect_b32 s16, s14, 56
	s_and_b64 vcc, exec, s[18:19]
	s_cbranch_vccnz .LBB6_470
; %bb.466:                              ;   in Loop: Header=BB6_465 Depth=1
	s_waitcnt vmcnt(0)
	v_mov_b32_e32 v2, 0
	s_cmp_eq_u64 s[14:15], 0
	v_mov_b32_e32 v3, 0
	s_mov_b64 s[4:5], 0
	s_cbranch_scc1 .LBB6_469
; %bb.467:                              ;   in Loop: Header=BB6_465 Depth=1
	v_mov_b32_e32 v2, 0
	s_lshl_b64 s[18:19], s[16:17], 3
	s_mov_b64 s[20:21], 0
	v_mov_b32_e32 v3, 0
	s_mov_b64 s[22:23], s[12:13]
.LBB6_468:                              ;   Parent Loop BB6_465 Depth=1
                                        ; =>  This Inner Loop Header: Depth=2
	global_load_ubyte v6, v26, s[22:23]
	s_waitcnt vmcnt(0)
	v_and_b32_e32 v25, 0xffff, v6
	v_lshlrev_b64 v[6:7], s20, v[25:26]
	s_add_u32 s20, s20, 8
	s_addc_u32 s21, s21, 0
	s_add_u32 s22, s22, 1
	s_addc_u32 s23, s23, 0
	v_or_b32_e32 v2, v6, v2
	s_cmp_lg_u32 s18, s20
	v_or_b32_e32 v3, v7, v3
	s_cbranch_scc1 .LBB6_468
.LBB6_469:                              ;   in Loop: Header=BB6_465 Depth=1
	s_mov_b32 s22, 0
	s_andn2_b64 vcc, exec, s[4:5]
	s_mov_b64 s[4:5], s[12:13]
	s_cbranch_vccz .LBB6_471
	s_branch .LBB6_472
.LBB6_470:                              ;   in Loop: Header=BB6_465 Depth=1
                                        ; implicit-def: $vgpr2_vgpr3
                                        ; implicit-def: $sgpr22
	s_mov_b64 s[4:5], s[12:13]
.LBB6_471:                              ;   in Loop: Header=BB6_465 Depth=1
	global_load_dwordx2 v[2:3], v26, s[12:13]
	s_add_i32 s22, s16, -8
	s_add_u32 s4, s12, 8
	s_addc_u32 s5, s13, 0
.LBB6_472:                              ;   in Loop: Header=BB6_465 Depth=1
	s_cmp_gt_u32 s22, 7
	s_cbranch_scc1 .LBB6_476
; %bb.473:                              ;   in Loop: Header=BB6_465 Depth=1
	s_cmp_eq_u32 s22, 0
	s_cbranch_scc1 .LBB6_477
; %bb.474:                              ;   in Loop: Header=BB6_465 Depth=1
	v_mov_b32_e32 v10, 0
	s_mov_b64 s[18:19], 0
	v_mov_b32_e32 v11, 0
	s_mov_b64 s[20:21], 0
.LBB6_475:                              ;   Parent Loop BB6_465 Depth=1
                                        ; =>  This Inner Loop Header: Depth=2
	s_add_u32 s24, s4, s20
	s_addc_u32 s25, s5, s21
	global_load_ubyte v6, v26, s[24:25]
	s_add_u32 s20, s20, 1
	s_addc_u32 s21, s21, 0
	s_waitcnt vmcnt(0)
	v_and_b32_e32 v25, 0xffff, v6
	v_lshlrev_b64 v[6:7], s18, v[25:26]
	s_add_u32 s18, s18, 8
	s_addc_u32 s19, s19, 0
	v_or_b32_e32 v10, v6, v10
	s_cmp_lg_u32 s22, s20
	v_or_b32_e32 v11, v7, v11
	s_cbranch_scc1 .LBB6_475
	s_branch .LBB6_478
.LBB6_476:                              ;   in Loop: Header=BB6_465 Depth=1
                                        ; implicit-def: $vgpr10_vgpr11
                                        ; implicit-def: $sgpr23
	s_branch .LBB6_479
.LBB6_477:                              ;   in Loop: Header=BB6_465 Depth=1
	v_mov_b32_e32 v10, 0
	v_mov_b32_e32 v11, 0
.LBB6_478:                              ;   in Loop: Header=BB6_465 Depth=1
	s_mov_b32 s23, 0
	s_cbranch_execnz .LBB6_480
.LBB6_479:                              ;   in Loop: Header=BB6_465 Depth=1
	global_load_dwordx2 v[10:11], v26, s[4:5]
	s_add_i32 s23, s22, -8
	s_add_u32 s4, s4, 8
	s_addc_u32 s5, s5, 0
.LBB6_480:                              ;   in Loop: Header=BB6_465 Depth=1
	s_cmp_gt_u32 s23, 7
	s_cbranch_scc1 .LBB6_484
; %bb.481:                              ;   in Loop: Header=BB6_465 Depth=1
	s_cmp_eq_u32 s23, 0
	s_cbranch_scc1 .LBB6_485
; %bb.482:                              ;   in Loop: Header=BB6_465 Depth=1
	v_mov_b32_e32 v12, 0
	s_mov_b64 s[18:19], 0
	v_mov_b32_e32 v13, 0
	s_mov_b64 s[20:21], 0
.LBB6_483:                              ;   Parent Loop BB6_465 Depth=1
                                        ; =>  This Inner Loop Header: Depth=2
	s_add_u32 s24, s4, s20
	s_addc_u32 s25, s5, s21
	global_load_ubyte v6, v26, s[24:25]
	s_add_u32 s20, s20, 1
	s_addc_u32 s21, s21, 0
	s_waitcnt vmcnt(0)
	v_and_b32_e32 v25, 0xffff, v6
	v_lshlrev_b64 v[6:7], s18, v[25:26]
	s_add_u32 s18, s18, 8
	s_addc_u32 s19, s19, 0
	v_or_b32_e32 v12, v6, v12
	s_cmp_lg_u32 s23, s20
	v_or_b32_e32 v13, v7, v13
	s_cbranch_scc1 .LBB6_483
	s_branch .LBB6_486
.LBB6_484:                              ;   in Loop: Header=BB6_465 Depth=1
                                        ; implicit-def: $sgpr22
	s_branch .LBB6_487
.LBB6_485:                              ;   in Loop: Header=BB6_465 Depth=1
	v_mov_b32_e32 v12, 0
	v_mov_b32_e32 v13, 0
.LBB6_486:                              ;   in Loop: Header=BB6_465 Depth=1
	s_mov_b32 s22, 0
	s_cbranch_execnz .LBB6_488
.LBB6_487:                              ;   in Loop: Header=BB6_465 Depth=1
	global_load_dwordx2 v[12:13], v26, s[4:5]
	s_add_i32 s22, s23, -8
	s_add_u32 s4, s4, 8
	s_addc_u32 s5, s5, 0
.LBB6_488:                              ;   in Loop: Header=BB6_465 Depth=1
	s_cmp_gt_u32 s22, 7
	s_cbranch_scc1 .LBB6_492
; %bb.489:                              ;   in Loop: Header=BB6_465 Depth=1
	s_cmp_eq_u32 s22, 0
	s_cbranch_scc1 .LBB6_493
; %bb.490:                              ;   in Loop: Header=BB6_465 Depth=1
	v_mov_b32_e32 v14, 0
	s_mov_b64 s[18:19], 0
	v_mov_b32_e32 v15, 0
	s_mov_b64 s[20:21], 0
.LBB6_491:                              ;   Parent Loop BB6_465 Depth=1
                                        ; =>  This Inner Loop Header: Depth=2
	s_add_u32 s24, s4, s20
	s_addc_u32 s25, s5, s21
	global_load_ubyte v6, v26, s[24:25]
	s_add_u32 s20, s20, 1
	s_addc_u32 s21, s21, 0
	s_waitcnt vmcnt(0)
	v_and_b32_e32 v25, 0xffff, v6
	v_lshlrev_b64 v[6:7], s18, v[25:26]
	s_add_u32 s18, s18, 8
	s_addc_u32 s19, s19, 0
	v_or_b32_e32 v14, v6, v14
	s_cmp_lg_u32 s22, s20
	v_or_b32_e32 v15, v7, v15
	s_cbranch_scc1 .LBB6_491
	s_branch .LBB6_494
.LBB6_492:                              ;   in Loop: Header=BB6_465 Depth=1
                                        ; implicit-def: $vgpr14_vgpr15
                                        ; implicit-def: $sgpr23
	s_branch .LBB6_495
.LBB6_493:                              ;   in Loop: Header=BB6_465 Depth=1
	v_mov_b32_e32 v14, 0
	v_mov_b32_e32 v15, 0
.LBB6_494:                              ;   in Loop: Header=BB6_465 Depth=1
	s_mov_b32 s23, 0
	s_cbranch_execnz .LBB6_496
.LBB6_495:                              ;   in Loop: Header=BB6_465 Depth=1
	global_load_dwordx2 v[14:15], v26, s[4:5]
	s_add_i32 s23, s22, -8
	s_add_u32 s4, s4, 8
	s_addc_u32 s5, s5, 0
.LBB6_496:                              ;   in Loop: Header=BB6_465 Depth=1
	s_cmp_gt_u32 s23, 7
	s_cbranch_scc1 .LBB6_500
; %bb.497:                              ;   in Loop: Header=BB6_465 Depth=1
	s_cmp_eq_u32 s23, 0
	s_cbranch_scc1 .LBB6_501
; %bb.498:                              ;   in Loop: Header=BB6_465 Depth=1
	v_mov_b32_e32 v16, 0
	s_mov_b64 s[18:19], 0
	v_mov_b32_e32 v17, 0
	s_mov_b64 s[20:21], 0
.LBB6_499:                              ;   Parent Loop BB6_465 Depth=1
                                        ; =>  This Inner Loop Header: Depth=2
	s_add_u32 s24, s4, s20
	s_addc_u32 s25, s5, s21
	global_load_ubyte v6, v26, s[24:25]
	s_add_u32 s20, s20, 1
	s_addc_u32 s21, s21, 0
	s_waitcnt vmcnt(0)
	v_and_b32_e32 v25, 0xffff, v6
	v_lshlrev_b64 v[6:7], s18, v[25:26]
	s_add_u32 s18, s18, 8
	s_addc_u32 s19, s19, 0
	v_or_b32_e32 v16, v6, v16
	s_cmp_lg_u32 s23, s20
	v_or_b32_e32 v17, v7, v17
	s_cbranch_scc1 .LBB6_499
	s_branch .LBB6_502
.LBB6_500:                              ;   in Loop: Header=BB6_465 Depth=1
                                        ; implicit-def: $sgpr22
	s_branch .LBB6_503
.LBB6_501:                              ;   in Loop: Header=BB6_465 Depth=1
	v_mov_b32_e32 v16, 0
	v_mov_b32_e32 v17, 0
.LBB6_502:                              ;   in Loop: Header=BB6_465 Depth=1
	s_mov_b32 s22, 0
	s_cbranch_execnz .LBB6_504
.LBB6_503:                              ;   in Loop: Header=BB6_465 Depth=1
	global_load_dwordx2 v[16:17], v26, s[4:5]
	s_add_i32 s22, s23, -8
	s_add_u32 s4, s4, 8
	s_addc_u32 s5, s5, 0
.LBB6_504:                              ;   in Loop: Header=BB6_465 Depth=1
	s_cmp_gt_u32 s22, 7
	s_cbranch_scc1 .LBB6_508
; %bb.505:                              ;   in Loop: Header=BB6_465 Depth=1
	s_cmp_eq_u32 s22, 0
	s_cbranch_scc1 .LBB6_509
; %bb.506:                              ;   in Loop: Header=BB6_465 Depth=1
	v_mov_b32_e32 v18, 0
	s_mov_b64 s[18:19], 0
	v_mov_b32_e32 v19, 0
	s_mov_b64 s[20:21], 0
.LBB6_507:                              ;   Parent Loop BB6_465 Depth=1
                                        ; =>  This Inner Loop Header: Depth=2
	s_add_u32 s24, s4, s20
	s_addc_u32 s25, s5, s21
	global_load_ubyte v6, v26, s[24:25]
	s_add_u32 s20, s20, 1
	s_addc_u32 s21, s21, 0
	s_waitcnt vmcnt(0)
	v_and_b32_e32 v25, 0xffff, v6
	v_lshlrev_b64 v[6:7], s18, v[25:26]
	s_add_u32 s18, s18, 8
	s_addc_u32 s19, s19, 0
	v_or_b32_e32 v18, v6, v18
	s_cmp_lg_u32 s22, s20
	v_or_b32_e32 v19, v7, v19
	s_cbranch_scc1 .LBB6_507
	s_branch .LBB6_510
.LBB6_508:                              ;   in Loop: Header=BB6_465 Depth=1
                                        ; implicit-def: $vgpr18_vgpr19
                                        ; implicit-def: $sgpr23
	s_branch .LBB6_511
.LBB6_509:                              ;   in Loop: Header=BB6_465 Depth=1
	v_mov_b32_e32 v18, 0
	v_mov_b32_e32 v19, 0
.LBB6_510:                              ;   in Loop: Header=BB6_465 Depth=1
	s_mov_b32 s23, 0
	s_cbranch_execnz .LBB6_512
.LBB6_511:                              ;   in Loop: Header=BB6_465 Depth=1
	global_load_dwordx2 v[18:19], v26, s[4:5]
	s_add_i32 s23, s22, -8
	s_add_u32 s4, s4, 8
	s_addc_u32 s5, s5, 0
.LBB6_512:                              ;   in Loop: Header=BB6_465 Depth=1
	s_cmp_gt_u32 s23, 7
	s_cbranch_scc1 .LBB6_516
; %bb.513:                              ;   in Loop: Header=BB6_465 Depth=1
	s_cmp_eq_u32 s23, 0
	s_cbranch_scc1 .LBB6_517
; %bb.514:                              ;   in Loop: Header=BB6_465 Depth=1
	v_mov_b32_e32 v20, 0
	s_mov_b64 s[18:19], 0
	v_mov_b32_e32 v21, 0
	s_mov_b64 s[20:21], s[4:5]
.LBB6_515:                              ;   Parent Loop BB6_465 Depth=1
                                        ; =>  This Inner Loop Header: Depth=2
	global_load_ubyte v6, v26, s[20:21]
	s_add_i32 s23, s23, -1
	s_waitcnt vmcnt(0)
	v_and_b32_e32 v25, 0xffff, v6
	v_lshlrev_b64 v[6:7], s18, v[25:26]
	s_add_u32 s18, s18, 8
	s_addc_u32 s19, s19, 0
	s_add_u32 s20, s20, 1
	s_addc_u32 s21, s21, 0
	v_or_b32_e32 v20, v6, v20
	s_cmp_lg_u32 s23, 0
	v_or_b32_e32 v21, v7, v21
	s_cbranch_scc1 .LBB6_515
	s_branch .LBB6_518
.LBB6_516:                              ;   in Loop: Header=BB6_465 Depth=1
	s_branch .LBB6_519
.LBB6_517:                              ;   in Loop: Header=BB6_465 Depth=1
	v_mov_b32_e32 v20, 0
	v_mov_b32_e32 v21, 0
.LBB6_518:                              ;   in Loop: Header=BB6_465 Depth=1
	s_cbranch_execnz .LBB6_520
.LBB6_519:                              ;   in Loop: Header=BB6_465 Depth=1
	global_load_dwordx2 v[20:21], v26, s[4:5]
.LBB6_520:                              ;   in Loop: Header=BB6_465 Depth=1
	v_readfirstlane_b32 s4, v32
	v_mov_b32_e32 v6, 0
	v_mov_b32_e32 v7, 0
	v_cmp_eq_u32_e64 s[4:5], s4, v32
	s_and_saveexec_b64 s[18:19], s[4:5]
	s_cbranch_execz .LBB6_526
; %bb.521:                              ;   in Loop: Header=BB6_465 Depth=1
	global_load_dwordx2 v[24:25], v26, s[6:7] offset:24 glc
	s_waitcnt vmcnt(0)
	buffer_wbinvl1_vol
	global_load_dwordx2 v[6:7], v26, s[6:7] offset:40
	global_load_dwordx2 v[22:23], v26, s[6:7]
	s_waitcnt vmcnt(1)
	v_and_b32_e32 v6, v6, v24
	v_and_b32_e32 v7, v7, v25
	v_mul_lo_u32 v7, v7, 24
	v_mul_hi_u32 v27, v6, 24
	v_mul_lo_u32 v6, v6, 24
	v_add_u32_e32 v7, v27, v7
	s_waitcnt vmcnt(0)
	v_add_co_u32_e32 v6, vcc, v22, v6
	v_addc_co_u32_e32 v7, vcc, v23, v7, vcc
	global_load_dwordx2 v[22:23], v[6:7], off glc
	s_waitcnt vmcnt(0)
	global_atomic_cmpswap_x2 v[6:7], v26, v[22:25], s[6:7] offset:24 glc
	s_waitcnt vmcnt(0)
	buffer_wbinvl1_vol
	v_cmp_ne_u64_e32 vcc, v[6:7], v[24:25]
	s_and_saveexec_b64 s[20:21], vcc
	s_cbranch_execz .LBB6_525
; %bb.522:                              ;   in Loop: Header=BB6_465 Depth=1
	s_mov_b64 s[22:23], 0
.LBB6_523:                              ;   Parent Loop BB6_465 Depth=1
                                        ; =>  This Inner Loop Header: Depth=2
	s_sleep 1
	global_load_dwordx2 v[22:23], v26, s[6:7] offset:40
	global_load_dwordx2 v[27:28], v26, s[6:7]
	v_mov_b32_e32 v25, v7
	v_mov_b32_e32 v24, v6
	s_waitcnt vmcnt(1)
	v_and_b32_e32 v6, v22, v24
	s_waitcnt vmcnt(0)
	v_mad_u64_u32 v[6:7], s[24:25], v6, 24, v[27:28]
	v_and_b32_e32 v22, v23, v25
	v_mad_u64_u32 v[22:23], s[24:25], v22, 24, v[7:8]
	v_mov_b32_e32 v7, v22
	global_load_dwordx2 v[22:23], v[6:7], off glc
	s_waitcnt vmcnt(0)
	global_atomic_cmpswap_x2 v[6:7], v26, v[22:25], s[6:7] offset:24 glc
	s_waitcnt vmcnt(0)
	buffer_wbinvl1_vol
	v_cmp_eq_u64_e32 vcc, v[6:7], v[24:25]
	s_or_b64 s[22:23], vcc, s[22:23]
	s_andn2_b64 exec, exec, s[22:23]
	s_cbranch_execnz .LBB6_523
; %bb.524:                              ;   in Loop: Header=BB6_465 Depth=1
	s_or_b64 exec, exec, s[22:23]
.LBB6_525:                              ;   in Loop: Header=BB6_465 Depth=1
	s_or_b64 exec, exec, s[20:21]
.LBB6_526:                              ;   in Loop: Header=BB6_465 Depth=1
	s_or_b64 exec, exec, s[18:19]
	global_load_dwordx2 v[27:28], v26, s[6:7] offset:40
	global_load_dwordx4 v[22:25], v26, s[6:7]
	v_readfirstlane_b32 s18, v6
	v_readfirstlane_b32 s19, v7
	s_mov_b64 s[22:23], exec
	s_waitcnt vmcnt(1)
	v_readfirstlane_b32 s20, v27
	v_readfirstlane_b32 s21, v28
	s_and_b64 s[20:21], s[18:19], s[20:21]
	s_mul_i32 s24, s21, 24
	s_mul_hi_u32 s25, s20, 24
	s_mul_i32 s26, s20, 24
	s_add_i32 s24, s25, s24
	v_mov_b32_e32 v6, s24
	s_waitcnt vmcnt(0)
	v_add_co_u32_e32 v27, vcc, s26, v22
	v_addc_co_u32_e32 v28, vcc, v23, v6, vcc
	s_and_saveexec_b64 s[24:25], s[4:5]
	s_cbranch_execz .LBB6_528
; %bb.527:                              ;   in Loop: Header=BB6_465 Depth=1
	v_mov_b32_e32 v6, s22
	v_mov_b32_e32 v7, s23
	global_store_dwordx4 v[27:28], v[6:9], off offset:8
.LBB6_528:                              ;   in Loop: Header=BB6_465 Depth=1
	s_or_b64 exec, exec, s[24:25]
	v_cmp_gt_u64_e64 vcc, s[14:15], 56
	v_or_b32_e32 v6, 0, v1
	v_cndmask_b32_e32 v1, v6, v1, vcc
	v_or_b32_e32 v6, v0, v29
	s_lshl_b32 s22, s16, 2
	s_lshl_b64 s[20:21], s[20:21], 12
	v_cndmask_b32_e32 v0, v6, v0, vcc
	s_add_i32 s22, s22, 28
	v_mov_b32_e32 v6, s21
	v_add_co_u32_e32 v24, vcc, s20, v24
	s_and_b32 s22, s22, 0x1e0
	v_and_b32_e32 v0, 0xffffff1f, v0
	v_addc_co_u32_e32 v30, vcc, v25, v6, vcc
	v_or_b32_e32 v0, s22, v0
	v_readfirstlane_b32 s20, v24
	v_readfirstlane_b32 s21, v30
	s_nop 4
	global_store_dwordx4 v31, v[0:3], s[20:21]
	global_store_dwordx4 v31, v[10:13], s[20:21] offset:16
	global_store_dwordx4 v31, v[14:17], s[20:21] offset:32
	global_store_dwordx4 v31, v[18:21], s[20:21] offset:48
	s_and_saveexec_b64 s[20:21], s[4:5]
	s_cbranch_execz .LBB6_536
; %bb.529:                              ;   in Loop: Header=BB6_465 Depth=1
	global_load_dwordx2 v[12:13], v26, s[6:7] offset:32 glc
	global_load_dwordx2 v[0:1], v26, s[6:7] offset:40
	v_mov_b32_e32 v10, s18
	v_mov_b32_e32 v11, s19
	s_waitcnt vmcnt(0)
	v_readfirstlane_b32 s22, v0
	v_readfirstlane_b32 s23, v1
	s_and_b64 s[22:23], s[22:23], s[18:19]
	s_mul_i32 s23, s23, 24
	s_mul_hi_u32 s24, s22, 24
	s_mul_i32 s22, s22, 24
	s_add_i32 s23, s24, s23
	v_mov_b32_e32 v0, s23
	v_add_co_u32_e32 v6, vcc, s22, v22
	v_addc_co_u32_e32 v7, vcc, v23, v0, vcc
	global_store_dwordx2 v[6:7], v[12:13], off
	s_waitcnt vmcnt(0)
	global_atomic_cmpswap_x2 v[2:3], v26, v[10:13], s[6:7] offset:32 glc
	s_waitcnt vmcnt(0)
	v_cmp_ne_u64_e32 vcc, v[2:3], v[12:13]
	s_and_saveexec_b64 s[22:23], vcc
	s_cbranch_execz .LBB6_532
; %bb.530:                              ;   in Loop: Header=BB6_465 Depth=1
	s_mov_b64 s[24:25], 0
.LBB6_531:                              ;   Parent Loop BB6_465 Depth=1
                                        ; =>  This Inner Loop Header: Depth=2
	s_sleep 1
	global_store_dwordx2 v[6:7], v[2:3], off
	v_mov_b32_e32 v0, s18
	v_mov_b32_e32 v1, s19
	s_waitcnt vmcnt(0)
	global_atomic_cmpswap_x2 v[0:1], v26, v[0:3], s[6:7] offset:32 glc
	s_waitcnt vmcnt(0)
	v_cmp_eq_u64_e32 vcc, v[0:1], v[2:3]
	v_mov_b32_e32 v3, v1
	s_or_b64 s[24:25], vcc, s[24:25]
	v_mov_b32_e32 v2, v0
	s_andn2_b64 exec, exec, s[24:25]
	s_cbranch_execnz .LBB6_531
.LBB6_532:                              ;   in Loop: Header=BB6_465 Depth=1
	s_or_b64 exec, exec, s[22:23]
	global_load_dwordx2 v[0:1], v26, s[6:7] offset:16
	s_mov_b64 s[24:25], exec
	v_mbcnt_lo_u32_b32 v2, s24, 0
	v_mbcnt_hi_u32_b32 v2, s25, v2
	v_cmp_eq_u32_e32 vcc, 0, v2
	s_and_saveexec_b64 s[22:23], vcc
	s_cbranch_execz .LBB6_534
; %bb.533:                              ;   in Loop: Header=BB6_465 Depth=1
	s_bcnt1_i32_b64 s24, s[24:25]
	v_mov_b32_e32 v25, s24
	s_waitcnt vmcnt(0)
	global_atomic_add_x2 v[0:1], v[25:26], off offset:8
.LBB6_534:                              ;   in Loop: Header=BB6_465 Depth=1
	s_or_b64 exec, exec, s[22:23]
	s_waitcnt vmcnt(0)
	global_load_dwordx2 v[2:3], v[0:1], off offset:16
	s_waitcnt vmcnt(0)
	v_cmp_eq_u64_e32 vcc, 0, v[2:3]
	s_cbranch_vccnz .LBB6_536
; %bb.535:                              ;   in Loop: Header=BB6_465 Depth=1
	global_load_dword v25, v[0:1], off offset:24
	s_waitcnt vmcnt(0)
	v_and_b32_e32 v0, 0xffffff, v25
	v_readfirstlane_b32 m0, v0
	global_store_dwordx2 v[2:3], v[25:26], off
	s_sendmsg sendmsg(MSG_INTERRUPT)
.LBB6_536:                              ;   in Loop: Header=BB6_465 Depth=1
	s_or_b64 exec, exec, s[20:21]
	v_add_co_u32_e32 v0, vcc, v24, v31
	v_addc_co_u32_e32 v1, vcc, 0, v30, vcc
	s_branch .LBB6_540
.LBB6_537:                              ;   in Loop: Header=BB6_540 Depth=2
	s_or_b64 exec, exec, s[20:21]
	v_readfirstlane_b32 s20, v2
	s_cmp_eq_u32 s20, 0
	s_cbranch_scc1 .LBB6_539
; %bb.538:                              ;   in Loop: Header=BB6_540 Depth=2
	s_sleep 1
	s_cbranch_execnz .LBB6_540
	s_branch .LBB6_542
.LBB6_539:                              ;   in Loop: Header=BB6_465 Depth=1
	s_branch .LBB6_542
.LBB6_540:                              ;   Parent Loop BB6_465 Depth=1
                                        ; =>  This Inner Loop Header: Depth=2
	v_mov_b32_e32 v2, 1
	s_and_saveexec_b64 s[20:21], s[4:5]
	s_cbranch_execz .LBB6_537
; %bb.541:                              ;   in Loop: Header=BB6_540 Depth=2
	global_load_dword v2, v[27:28], off offset:20 glc
	s_waitcnt vmcnt(0)
	buffer_wbinvl1_vol
	v_and_b32_e32 v2, 1, v2
	s_branch .LBB6_537
.LBB6_542:                              ;   in Loop: Header=BB6_465 Depth=1
	global_load_dwordx4 v[0:3], v[0:1], off
	s_and_saveexec_b64 s[20:21], s[4:5]
	s_cbranch_execz .LBB6_464
; %bb.543:                              ;   in Loop: Header=BB6_465 Depth=1
	global_load_dwordx2 v[2:3], v26, s[6:7] offset:40
	global_load_dwordx2 v[6:7], v26, s[6:7] offset:24 glc
	global_load_dwordx2 v[13:14], v26, s[6:7]
	v_mov_b32_e32 v11, s19
	s_waitcnt vmcnt(2)
	v_add_co_u32_e32 v12, vcc, 1, v2
	v_addc_co_u32_e32 v15, vcc, 0, v3, vcc
	v_add_co_u32_e32 v10, vcc, s18, v12
	v_addc_co_u32_e32 v11, vcc, v15, v11, vcc
	v_cmp_eq_u64_e32 vcc, 0, v[10:11]
	v_cndmask_b32_e32 v11, v11, v15, vcc
	v_cndmask_b32_e32 v10, v10, v12, vcc
	v_and_b32_e32 v3, v11, v3
	v_and_b32_e32 v2, v10, v2
	v_mul_lo_u32 v3, v3, 24
	v_mul_hi_u32 v15, v2, 24
	v_mul_lo_u32 v2, v2, 24
	s_waitcnt vmcnt(1)
	v_mov_b32_e32 v12, v6
	v_add_u32_e32 v3, v15, v3
	s_waitcnt vmcnt(0)
	v_add_co_u32_e32 v2, vcc, v13, v2
	v_addc_co_u32_e32 v3, vcc, v14, v3, vcc
	global_store_dwordx2 v[2:3], v[6:7], off
	v_mov_b32_e32 v13, v7
	s_waitcnt vmcnt(0)
	global_atomic_cmpswap_x2 v[12:13], v26, v[10:13], s[6:7] offset:24 glc
	s_waitcnt vmcnt(0)
	v_cmp_ne_u64_e32 vcc, v[12:13], v[6:7]
	s_and_b64 exec, exec, vcc
	s_cbranch_execz .LBB6_464
; %bb.544:                              ;   in Loop: Header=BB6_465 Depth=1
	s_mov_b64 s[4:5], 0
.LBB6_545:                              ;   Parent Loop BB6_465 Depth=1
                                        ; =>  This Inner Loop Header: Depth=2
	s_sleep 1
	global_store_dwordx2 v[2:3], v[12:13], off
	s_waitcnt vmcnt(0)
	global_atomic_cmpswap_x2 v[6:7], v26, v[10:13], s[6:7] offset:24 glc
	s_waitcnt vmcnt(0)
	v_cmp_eq_u64_e32 vcc, v[6:7], v[12:13]
	v_mov_b32_e32 v13, v7
	s_or_b64 s[4:5], vcc, s[4:5]
	v_mov_b32_e32 v12, v6
	s_andn2_b64 exec, exec, s[4:5]
	s_cbranch_execnz .LBB6_545
	s_branch .LBB6_464
.LBB6_546:
	s_branch .LBB6_574
.LBB6_547:
                                        ; implicit-def: $vgpr0_vgpr1
	s_cbranch_execz .LBB6_574
; %bb.548:
	v_readfirstlane_b32 s4, v32
	v_mov_b32_e32 v7, 0
	v_mov_b32_e32 v8, 0
	v_cmp_eq_u32_e64 s[4:5], s4, v32
	s_and_saveexec_b64 s[12:13], s[4:5]
	s_cbranch_execz .LBB6_554
; %bb.549:
	s_waitcnt vmcnt(0)
	v_mov_b32_e32 v0, 0
	global_load_dwordx2 v[9:10], v0, s[6:7] offset:24 glc
	s_waitcnt vmcnt(0)
	buffer_wbinvl1_vol
	global_load_dwordx2 v[1:2], v0, s[6:7] offset:40
	global_load_dwordx2 v[6:7], v0, s[6:7]
	s_waitcnt vmcnt(1)
	v_and_b32_e32 v1, v1, v9
	v_and_b32_e32 v2, v2, v10
	v_mul_lo_u32 v2, v2, 24
	v_mul_hi_u32 v3, v1, 24
	v_mul_lo_u32 v1, v1, 24
	v_add_u32_e32 v2, v3, v2
	s_waitcnt vmcnt(0)
	v_add_co_u32_e32 v1, vcc, v6, v1
	v_addc_co_u32_e32 v2, vcc, v7, v2, vcc
	global_load_dwordx2 v[7:8], v[1:2], off glc
	s_waitcnt vmcnt(0)
	global_atomic_cmpswap_x2 v[7:8], v0, v[7:10], s[6:7] offset:24 glc
	s_waitcnt vmcnt(0)
	buffer_wbinvl1_vol
	v_cmp_ne_u64_e32 vcc, v[7:8], v[9:10]
	s_and_saveexec_b64 s[14:15], vcc
	s_cbranch_execz .LBB6_553
; %bb.550:
	s_mov_b64 s[16:17], 0
.LBB6_551:                              ; =>This Inner Loop Header: Depth=1
	s_sleep 1
	global_load_dwordx2 v[1:2], v0, s[6:7] offset:40
	global_load_dwordx2 v[11:12], v0, s[6:7]
	v_mov_b32_e32 v10, v8
	v_mov_b32_e32 v9, v7
	s_waitcnt vmcnt(1)
	v_and_b32_e32 v1, v1, v9
	s_waitcnt vmcnt(0)
	v_mad_u64_u32 v[6:7], s[18:19], v1, 24, v[11:12]
	v_and_b32_e32 v2, v2, v10
	v_mov_b32_e32 v1, v7
	v_mad_u64_u32 v[1:2], s[18:19], v2, 24, v[1:2]
	v_mov_b32_e32 v7, v1
	global_load_dwordx2 v[7:8], v[6:7], off glc
	s_waitcnt vmcnt(0)
	global_atomic_cmpswap_x2 v[7:8], v0, v[7:10], s[6:7] offset:24 glc
	s_waitcnt vmcnt(0)
	buffer_wbinvl1_vol
	v_cmp_eq_u64_e32 vcc, v[7:8], v[9:10]
	s_or_b64 s[16:17], vcc, s[16:17]
	s_andn2_b64 exec, exec, s[16:17]
	s_cbranch_execnz .LBB6_551
; %bb.552:
	s_or_b64 exec, exec, s[16:17]
.LBB6_553:
	s_or_b64 exec, exec, s[14:15]
.LBB6_554:
	s_or_b64 exec, exec, s[12:13]
	v_mov_b32_e32 v6, 0
	global_load_dwordx2 v[9:10], v6, s[6:7] offset:40
	global_load_dwordx4 v[0:3], v6, s[6:7]
	v_readfirstlane_b32 s12, v7
	v_readfirstlane_b32 s13, v8
	s_mov_b64 s[14:15], exec
	s_waitcnt vmcnt(1)
	v_readfirstlane_b32 s16, v9
	v_readfirstlane_b32 s17, v10
	s_and_b64 s[16:17], s[12:13], s[16:17]
	s_mul_i32 s18, s17, 24
	s_mul_hi_u32 s19, s16, 24
	s_mul_i32 s20, s16, 24
	s_add_i32 s18, s19, s18
	v_mov_b32_e32 v7, s18
	s_waitcnt vmcnt(0)
	v_add_co_u32_e32 v8, vcc, s20, v0
	v_addc_co_u32_e32 v9, vcc, v1, v7, vcc
	s_and_saveexec_b64 s[18:19], s[4:5]
	s_cbranch_execz .LBB6_556
; %bb.555:
	v_mov_b32_e32 v10, s14
	v_mov_b32_e32 v11, s15
	;; [unrolled: 1-line block ×4, first 2 shown]
	global_store_dwordx4 v[8:9], v[10:13], off offset:8
.LBB6_556:
	s_or_b64 exec, exec, s[18:19]
	s_lshl_b64 s[14:15], s[16:17], 12
	v_mov_b32_e32 v7, s15
	v_add_co_u32_e32 v2, vcc, s14, v2
	v_addc_co_u32_e32 v3, vcc, v3, v7, vcc
	s_movk_i32 s14, 0xff1f
	v_and_or_b32 v4, v4, s14, 32
	v_add_co_u32_e32 v10, vcc, v2, v31
	s_mov_b32 s16, 0
	v_mov_b32_e32 v7, v6
	v_readfirstlane_b32 s14, v2
	v_readfirstlane_b32 s15, v3
	v_addc_co_u32_e32 v11, vcc, 0, v3, vcc
	s_mov_b32 s17, s16
	s_mov_b32 s18, s16
	;; [unrolled: 1-line block ×3, first 2 shown]
	s_nop 0
	global_store_dwordx4 v31, v[4:7], s[14:15]
	v_mov_b32_e32 v2, s16
	v_mov_b32_e32 v3, s17
	v_mov_b32_e32 v4, s18
	v_mov_b32_e32 v5, s19
	global_store_dwordx4 v31, v[2:5], s[14:15] offset:16
	global_store_dwordx4 v31, v[2:5], s[14:15] offset:32
	;; [unrolled: 1-line block ×3, first 2 shown]
	s_and_saveexec_b64 s[14:15], s[4:5]
	s_cbranch_execz .LBB6_564
; %bb.557:
	v_mov_b32_e32 v6, 0
	global_load_dwordx2 v[14:15], v6, s[6:7] offset:32 glc
	global_load_dwordx2 v[2:3], v6, s[6:7] offset:40
	v_mov_b32_e32 v12, s12
	v_mov_b32_e32 v13, s13
	s_waitcnt vmcnt(0)
	v_readfirstlane_b32 s16, v2
	v_readfirstlane_b32 s17, v3
	s_and_b64 s[16:17], s[16:17], s[12:13]
	s_mul_i32 s17, s17, 24
	s_mul_hi_u32 s18, s16, 24
	s_mul_i32 s16, s16, 24
	s_add_i32 s17, s18, s17
	v_mov_b32_e32 v2, s17
	v_add_co_u32_e32 v4, vcc, s16, v0
	v_addc_co_u32_e32 v5, vcc, v1, v2, vcc
	global_store_dwordx2 v[4:5], v[14:15], off
	s_waitcnt vmcnt(0)
	global_atomic_cmpswap_x2 v[2:3], v6, v[12:15], s[6:7] offset:32 glc
	s_waitcnt vmcnt(0)
	v_cmp_ne_u64_e32 vcc, v[2:3], v[14:15]
	s_and_saveexec_b64 s[16:17], vcc
	s_cbranch_execz .LBB6_560
; %bb.558:
	s_mov_b64 s[18:19], 0
.LBB6_559:                              ; =>This Inner Loop Header: Depth=1
	s_sleep 1
	global_store_dwordx2 v[4:5], v[2:3], off
	v_mov_b32_e32 v0, s12
	v_mov_b32_e32 v1, s13
	s_waitcnt vmcnt(0)
	global_atomic_cmpswap_x2 v[0:1], v6, v[0:3], s[6:7] offset:32 glc
	s_waitcnt vmcnt(0)
	v_cmp_eq_u64_e32 vcc, v[0:1], v[2:3]
	v_mov_b32_e32 v3, v1
	s_or_b64 s[18:19], vcc, s[18:19]
	v_mov_b32_e32 v2, v0
	s_andn2_b64 exec, exec, s[18:19]
	s_cbranch_execnz .LBB6_559
.LBB6_560:
	s_or_b64 exec, exec, s[16:17]
	v_mov_b32_e32 v3, 0
	global_load_dwordx2 v[0:1], v3, s[6:7] offset:16
	s_mov_b64 s[16:17], exec
	v_mbcnt_lo_u32_b32 v2, s16, 0
	v_mbcnt_hi_u32_b32 v2, s17, v2
	v_cmp_eq_u32_e32 vcc, 0, v2
	s_and_saveexec_b64 s[18:19], vcc
	s_cbranch_execz .LBB6_562
; %bb.561:
	s_bcnt1_i32_b64 s16, s[16:17]
	v_mov_b32_e32 v2, s16
	s_waitcnt vmcnt(0)
	global_atomic_add_x2 v[0:1], v[2:3], off offset:8
.LBB6_562:
	s_or_b64 exec, exec, s[18:19]
	s_waitcnt vmcnt(0)
	global_load_dwordx2 v[2:3], v[0:1], off offset:16
	s_waitcnt vmcnt(0)
	v_cmp_eq_u64_e32 vcc, 0, v[2:3]
	s_cbranch_vccnz .LBB6_564
; %bb.563:
	global_load_dword v0, v[0:1], off offset:24
	v_mov_b32_e32 v1, 0
	s_waitcnt vmcnt(0)
	global_store_dwordx2 v[2:3], v[0:1], off
	v_and_b32_e32 v0, 0xffffff, v0
	v_readfirstlane_b32 m0, v0
	s_sendmsg sendmsg(MSG_INTERRUPT)
.LBB6_564:
	s_or_b64 exec, exec, s[14:15]
	s_branch .LBB6_568
.LBB6_565:                              ;   in Loop: Header=BB6_568 Depth=1
	s_or_b64 exec, exec, s[14:15]
	v_readfirstlane_b32 s14, v0
	s_cmp_eq_u32 s14, 0
	s_cbranch_scc1 .LBB6_567
; %bb.566:                              ;   in Loop: Header=BB6_568 Depth=1
	s_sleep 1
	s_cbranch_execnz .LBB6_568
	s_branch .LBB6_570
.LBB6_567:
	s_branch .LBB6_570
.LBB6_568:                              ; =>This Inner Loop Header: Depth=1
	v_mov_b32_e32 v0, 1
	s_and_saveexec_b64 s[14:15], s[4:5]
	s_cbranch_execz .LBB6_565
; %bb.569:                              ;   in Loop: Header=BB6_568 Depth=1
	global_load_dword v0, v[8:9], off offset:20 glc
	s_waitcnt vmcnt(0)
	buffer_wbinvl1_vol
	v_and_b32_e32 v0, 1, v0
	s_branch .LBB6_565
.LBB6_570:
	global_load_dwordx2 v[0:1], v[10:11], off
	s_and_saveexec_b64 s[14:15], s[4:5]
	s_cbranch_execz .LBB6_573
; %bb.571:
	v_mov_b32_e32 v8, 0
	global_load_dwordx2 v[4:5], v8, s[6:7] offset:40
	global_load_dwordx2 v[9:10], v8, s[6:7] offset:24 glc
	global_load_dwordx2 v[6:7], v8, s[6:7]
	v_mov_b32_e32 v3, s13
	s_mov_b64 s[4:5], 0
	s_waitcnt vmcnt(2)
	v_add_co_u32_e32 v11, vcc, 1, v4
	v_addc_co_u32_e32 v12, vcc, 0, v5, vcc
	v_add_co_u32_e32 v2, vcc, s12, v11
	v_addc_co_u32_e32 v3, vcc, v12, v3, vcc
	v_cmp_eq_u64_e32 vcc, 0, v[2:3]
	v_cndmask_b32_e32 v3, v3, v12, vcc
	v_cndmask_b32_e32 v2, v2, v11, vcc
	v_and_b32_e32 v5, v3, v5
	v_and_b32_e32 v4, v2, v4
	v_mul_lo_u32 v5, v5, 24
	v_mul_hi_u32 v11, v4, 24
	v_mul_lo_u32 v12, v4, 24
	s_waitcnt vmcnt(1)
	v_mov_b32_e32 v4, v9
	v_add_u32_e32 v5, v11, v5
	s_waitcnt vmcnt(0)
	v_add_co_u32_e32 v6, vcc, v6, v12
	v_addc_co_u32_e32 v7, vcc, v7, v5, vcc
	global_store_dwordx2 v[6:7], v[9:10], off
	v_mov_b32_e32 v5, v10
	s_waitcnt vmcnt(0)
	global_atomic_cmpswap_x2 v[4:5], v8, v[2:5], s[6:7] offset:24 glc
	s_waitcnt vmcnt(0)
	v_cmp_ne_u64_e32 vcc, v[4:5], v[9:10]
	s_and_b64 exec, exec, vcc
	s_cbranch_execz .LBB6_573
.LBB6_572:                              ; =>This Inner Loop Header: Depth=1
	s_sleep 1
	global_store_dwordx2 v[6:7], v[4:5], off
	s_waitcnt vmcnt(0)
	global_atomic_cmpswap_x2 v[9:10], v8, v[2:5], s[6:7] offset:24 glc
	s_waitcnt vmcnt(0)
	v_cmp_eq_u64_e32 vcc, v[9:10], v[4:5]
	v_mov_b32_e32 v4, v9
	s_or_b64 s[4:5], vcc, s[4:5]
	v_mov_b32_e32 v5, v10
	s_andn2_b64 exec, exec, s[4:5]
	s_cbranch_execnz .LBB6_572
.LBB6_573:
	s_or_b64 exec, exec, s[14:15]
.LBB6_574:
	s_getpc_b64 s[12:13]
	s_add_u32 s12, s12, .str.1@rel32@lo+4
	s_addc_u32 s13, s13, .str.1@rel32@hi+12
	s_cmp_lg_u64 s[12:13], 0
	s_cbranch_scc0 .LBB6_659
; %bb.575:
	s_waitcnt vmcnt(0)
	v_and_b32_e32 v6, -3, v0
	v_mov_b32_e32 v7, v1
	s_mov_b64 s[14:15], 0x53
	v_mov_b32_e32 v26, 0
	v_mov_b32_e32 v4, 2
	;; [unrolled: 1-line block ×3, first 2 shown]
	s_branch .LBB6_577
.LBB6_576:                              ;   in Loop: Header=BB6_577 Depth=1
	s_or_b64 exec, exec, s[20:21]
	s_sub_u32 s14, s14, s16
	s_subb_u32 s15, s15, s17
	s_add_u32 s12, s12, s16
	s_addc_u32 s13, s13, s17
	s_cmp_lg_u64 s[14:15], 0
	s_cbranch_scc0 .LBB6_658
.LBB6_577:                              ; =>This Loop Header: Depth=1
                                        ;     Child Loop BB6_580 Depth 2
                                        ;     Child Loop BB6_587 Depth 2
	;; [unrolled: 1-line block ×11, first 2 shown]
	v_cmp_lt_u64_e64 s[4:5], s[14:15], 56
	v_cmp_gt_u64_e64 s[18:19], s[14:15], 7
	s_and_b64 s[4:5], s[4:5], exec
	s_cselect_b32 s17, s15, 0
	s_cselect_b32 s16, s14, 56
	s_and_b64 vcc, exec, s[18:19]
	s_cbranch_vccnz .LBB6_582
; %bb.578:                              ;   in Loop: Header=BB6_577 Depth=1
	s_waitcnt vmcnt(0)
	v_mov_b32_e32 v8, 0
	s_cmp_eq_u64 s[14:15], 0
	v_mov_b32_e32 v9, 0
	s_mov_b64 s[4:5], 0
	s_cbranch_scc1 .LBB6_581
; %bb.579:                              ;   in Loop: Header=BB6_577 Depth=1
	v_mov_b32_e32 v8, 0
	s_lshl_b64 s[18:19], s[16:17], 3
	s_mov_b64 s[20:21], 0
	v_mov_b32_e32 v9, 0
	s_mov_b64 s[22:23], s[12:13]
.LBB6_580:                              ;   Parent Loop BB6_577 Depth=1
                                        ; =>  This Inner Loop Header: Depth=2
	global_load_ubyte v2, v26, s[22:23]
	s_waitcnt vmcnt(0)
	v_and_b32_e32 v25, 0xffff, v2
	v_lshlrev_b64 v[2:3], s20, v[25:26]
	s_add_u32 s20, s20, 8
	s_addc_u32 s21, s21, 0
	s_add_u32 s22, s22, 1
	s_addc_u32 s23, s23, 0
	v_or_b32_e32 v8, v2, v8
	s_cmp_lg_u32 s18, s20
	v_or_b32_e32 v9, v3, v9
	s_cbranch_scc1 .LBB6_580
.LBB6_581:                              ;   in Loop: Header=BB6_577 Depth=1
	s_mov_b32 s22, 0
	s_andn2_b64 vcc, exec, s[4:5]
	s_mov_b64 s[4:5], s[12:13]
	s_cbranch_vccz .LBB6_583
	s_branch .LBB6_584
.LBB6_582:                              ;   in Loop: Header=BB6_577 Depth=1
                                        ; implicit-def: $sgpr22
	s_mov_b64 s[4:5], s[12:13]
.LBB6_583:                              ;   in Loop: Header=BB6_577 Depth=1
	global_load_dwordx2 v[8:9], v26, s[12:13]
	s_add_i32 s22, s16, -8
	s_add_u32 s4, s12, 8
	s_addc_u32 s5, s13, 0
.LBB6_584:                              ;   in Loop: Header=BB6_577 Depth=1
	s_cmp_gt_u32 s22, 7
	s_cbranch_scc1 .LBB6_588
; %bb.585:                              ;   in Loop: Header=BB6_577 Depth=1
	s_cmp_eq_u32 s22, 0
	s_cbranch_scc1 .LBB6_589
; %bb.586:                              ;   in Loop: Header=BB6_577 Depth=1
	v_mov_b32_e32 v10, 0
	s_mov_b64 s[18:19], 0
	v_mov_b32_e32 v11, 0
	s_mov_b64 s[20:21], 0
.LBB6_587:                              ;   Parent Loop BB6_577 Depth=1
                                        ; =>  This Inner Loop Header: Depth=2
	s_add_u32 s24, s4, s20
	s_addc_u32 s25, s5, s21
	global_load_ubyte v2, v26, s[24:25]
	s_add_u32 s20, s20, 1
	s_addc_u32 s21, s21, 0
	s_waitcnt vmcnt(0)
	v_and_b32_e32 v25, 0xffff, v2
	v_lshlrev_b64 v[2:3], s18, v[25:26]
	s_add_u32 s18, s18, 8
	s_addc_u32 s19, s19, 0
	v_or_b32_e32 v10, v2, v10
	s_cmp_lg_u32 s22, s20
	v_or_b32_e32 v11, v3, v11
	s_cbranch_scc1 .LBB6_587
	s_branch .LBB6_590
.LBB6_588:                              ;   in Loop: Header=BB6_577 Depth=1
                                        ; implicit-def: $vgpr10_vgpr11
                                        ; implicit-def: $sgpr23
	s_branch .LBB6_591
.LBB6_589:                              ;   in Loop: Header=BB6_577 Depth=1
	v_mov_b32_e32 v10, 0
	v_mov_b32_e32 v11, 0
.LBB6_590:                              ;   in Loop: Header=BB6_577 Depth=1
	s_mov_b32 s23, 0
	s_cbranch_execnz .LBB6_592
.LBB6_591:                              ;   in Loop: Header=BB6_577 Depth=1
	global_load_dwordx2 v[10:11], v26, s[4:5]
	s_add_i32 s23, s22, -8
	s_add_u32 s4, s4, 8
	s_addc_u32 s5, s5, 0
.LBB6_592:                              ;   in Loop: Header=BB6_577 Depth=1
	s_cmp_gt_u32 s23, 7
	s_cbranch_scc1 .LBB6_596
; %bb.593:                              ;   in Loop: Header=BB6_577 Depth=1
	s_cmp_eq_u32 s23, 0
	s_cbranch_scc1 .LBB6_597
; %bb.594:                              ;   in Loop: Header=BB6_577 Depth=1
	v_mov_b32_e32 v12, 0
	s_mov_b64 s[18:19], 0
	v_mov_b32_e32 v13, 0
	s_mov_b64 s[20:21], 0
.LBB6_595:                              ;   Parent Loop BB6_577 Depth=1
                                        ; =>  This Inner Loop Header: Depth=2
	s_add_u32 s24, s4, s20
	s_addc_u32 s25, s5, s21
	global_load_ubyte v2, v26, s[24:25]
	s_add_u32 s20, s20, 1
	s_addc_u32 s21, s21, 0
	s_waitcnt vmcnt(0)
	v_and_b32_e32 v25, 0xffff, v2
	v_lshlrev_b64 v[2:3], s18, v[25:26]
	s_add_u32 s18, s18, 8
	s_addc_u32 s19, s19, 0
	v_or_b32_e32 v12, v2, v12
	s_cmp_lg_u32 s23, s20
	v_or_b32_e32 v13, v3, v13
	s_cbranch_scc1 .LBB6_595
	s_branch .LBB6_598
.LBB6_596:                              ;   in Loop: Header=BB6_577 Depth=1
                                        ; implicit-def: $sgpr22
	s_branch .LBB6_599
.LBB6_597:                              ;   in Loop: Header=BB6_577 Depth=1
	v_mov_b32_e32 v12, 0
	v_mov_b32_e32 v13, 0
.LBB6_598:                              ;   in Loop: Header=BB6_577 Depth=1
	s_mov_b32 s22, 0
	s_cbranch_execnz .LBB6_600
.LBB6_599:                              ;   in Loop: Header=BB6_577 Depth=1
	global_load_dwordx2 v[12:13], v26, s[4:5]
	s_add_i32 s22, s23, -8
	s_add_u32 s4, s4, 8
	s_addc_u32 s5, s5, 0
.LBB6_600:                              ;   in Loop: Header=BB6_577 Depth=1
	s_cmp_gt_u32 s22, 7
	s_cbranch_scc1 .LBB6_604
; %bb.601:                              ;   in Loop: Header=BB6_577 Depth=1
	s_cmp_eq_u32 s22, 0
	s_cbranch_scc1 .LBB6_605
; %bb.602:                              ;   in Loop: Header=BB6_577 Depth=1
	v_mov_b32_e32 v14, 0
	s_mov_b64 s[18:19], 0
	v_mov_b32_e32 v15, 0
	s_mov_b64 s[20:21], 0
.LBB6_603:                              ;   Parent Loop BB6_577 Depth=1
                                        ; =>  This Inner Loop Header: Depth=2
	s_add_u32 s24, s4, s20
	s_addc_u32 s25, s5, s21
	global_load_ubyte v2, v26, s[24:25]
	s_add_u32 s20, s20, 1
	s_addc_u32 s21, s21, 0
	s_waitcnt vmcnt(0)
	v_and_b32_e32 v25, 0xffff, v2
	v_lshlrev_b64 v[2:3], s18, v[25:26]
	s_add_u32 s18, s18, 8
	s_addc_u32 s19, s19, 0
	v_or_b32_e32 v14, v2, v14
	s_cmp_lg_u32 s22, s20
	v_or_b32_e32 v15, v3, v15
	s_cbranch_scc1 .LBB6_603
	s_branch .LBB6_606
.LBB6_604:                              ;   in Loop: Header=BB6_577 Depth=1
                                        ; implicit-def: $vgpr14_vgpr15
                                        ; implicit-def: $sgpr23
	s_branch .LBB6_607
.LBB6_605:                              ;   in Loop: Header=BB6_577 Depth=1
	v_mov_b32_e32 v14, 0
	v_mov_b32_e32 v15, 0
.LBB6_606:                              ;   in Loop: Header=BB6_577 Depth=1
	s_mov_b32 s23, 0
	s_cbranch_execnz .LBB6_608
.LBB6_607:                              ;   in Loop: Header=BB6_577 Depth=1
	global_load_dwordx2 v[14:15], v26, s[4:5]
	s_add_i32 s23, s22, -8
	s_add_u32 s4, s4, 8
	s_addc_u32 s5, s5, 0
.LBB6_608:                              ;   in Loop: Header=BB6_577 Depth=1
	s_cmp_gt_u32 s23, 7
	s_cbranch_scc1 .LBB6_612
; %bb.609:                              ;   in Loop: Header=BB6_577 Depth=1
	s_cmp_eq_u32 s23, 0
	s_cbranch_scc1 .LBB6_613
; %bb.610:                              ;   in Loop: Header=BB6_577 Depth=1
	v_mov_b32_e32 v16, 0
	s_mov_b64 s[18:19], 0
	v_mov_b32_e32 v17, 0
	s_mov_b64 s[20:21], 0
.LBB6_611:                              ;   Parent Loop BB6_577 Depth=1
                                        ; =>  This Inner Loop Header: Depth=2
	s_add_u32 s24, s4, s20
	s_addc_u32 s25, s5, s21
	global_load_ubyte v2, v26, s[24:25]
	s_add_u32 s20, s20, 1
	s_addc_u32 s21, s21, 0
	s_waitcnt vmcnt(0)
	v_and_b32_e32 v25, 0xffff, v2
	v_lshlrev_b64 v[2:3], s18, v[25:26]
	s_add_u32 s18, s18, 8
	s_addc_u32 s19, s19, 0
	v_or_b32_e32 v16, v2, v16
	s_cmp_lg_u32 s23, s20
	v_or_b32_e32 v17, v3, v17
	s_cbranch_scc1 .LBB6_611
	s_branch .LBB6_614
.LBB6_612:                              ;   in Loop: Header=BB6_577 Depth=1
                                        ; implicit-def: $sgpr22
	s_branch .LBB6_615
.LBB6_613:                              ;   in Loop: Header=BB6_577 Depth=1
	v_mov_b32_e32 v16, 0
	v_mov_b32_e32 v17, 0
.LBB6_614:                              ;   in Loop: Header=BB6_577 Depth=1
	s_mov_b32 s22, 0
	s_cbranch_execnz .LBB6_616
.LBB6_615:                              ;   in Loop: Header=BB6_577 Depth=1
	global_load_dwordx2 v[16:17], v26, s[4:5]
	s_add_i32 s22, s23, -8
	s_add_u32 s4, s4, 8
	s_addc_u32 s5, s5, 0
.LBB6_616:                              ;   in Loop: Header=BB6_577 Depth=1
	s_cmp_gt_u32 s22, 7
	s_cbranch_scc1 .LBB6_620
; %bb.617:                              ;   in Loop: Header=BB6_577 Depth=1
	s_cmp_eq_u32 s22, 0
	s_cbranch_scc1 .LBB6_621
; %bb.618:                              ;   in Loop: Header=BB6_577 Depth=1
	v_mov_b32_e32 v18, 0
	s_mov_b64 s[18:19], 0
	v_mov_b32_e32 v19, 0
	s_mov_b64 s[20:21], 0
.LBB6_619:                              ;   Parent Loop BB6_577 Depth=1
                                        ; =>  This Inner Loop Header: Depth=2
	s_add_u32 s24, s4, s20
	s_addc_u32 s25, s5, s21
	global_load_ubyte v2, v26, s[24:25]
	s_add_u32 s20, s20, 1
	s_addc_u32 s21, s21, 0
	s_waitcnt vmcnt(0)
	v_and_b32_e32 v25, 0xffff, v2
	v_lshlrev_b64 v[2:3], s18, v[25:26]
	s_add_u32 s18, s18, 8
	s_addc_u32 s19, s19, 0
	v_or_b32_e32 v18, v2, v18
	s_cmp_lg_u32 s22, s20
	v_or_b32_e32 v19, v3, v19
	s_cbranch_scc1 .LBB6_619
	s_branch .LBB6_622
.LBB6_620:                              ;   in Loop: Header=BB6_577 Depth=1
                                        ; implicit-def: $vgpr18_vgpr19
                                        ; implicit-def: $sgpr23
	s_branch .LBB6_623
.LBB6_621:                              ;   in Loop: Header=BB6_577 Depth=1
	v_mov_b32_e32 v18, 0
	v_mov_b32_e32 v19, 0
.LBB6_622:                              ;   in Loop: Header=BB6_577 Depth=1
	s_mov_b32 s23, 0
	s_cbranch_execnz .LBB6_624
.LBB6_623:                              ;   in Loop: Header=BB6_577 Depth=1
	global_load_dwordx2 v[18:19], v26, s[4:5]
	s_add_i32 s23, s22, -8
	s_add_u32 s4, s4, 8
	s_addc_u32 s5, s5, 0
.LBB6_624:                              ;   in Loop: Header=BB6_577 Depth=1
	s_cmp_gt_u32 s23, 7
	s_cbranch_scc1 .LBB6_628
; %bb.625:                              ;   in Loop: Header=BB6_577 Depth=1
	s_cmp_eq_u32 s23, 0
	s_cbranch_scc1 .LBB6_629
; %bb.626:                              ;   in Loop: Header=BB6_577 Depth=1
	v_mov_b32_e32 v20, 0
	s_mov_b64 s[18:19], 0
	v_mov_b32_e32 v21, 0
	s_mov_b64 s[20:21], s[4:5]
.LBB6_627:                              ;   Parent Loop BB6_577 Depth=1
                                        ; =>  This Inner Loop Header: Depth=2
	global_load_ubyte v2, v26, s[20:21]
	s_add_i32 s23, s23, -1
	s_waitcnt vmcnt(0)
	v_and_b32_e32 v25, 0xffff, v2
	v_lshlrev_b64 v[2:3], s18, v[25:26]
	s_add_u32 s18, s18, 8
	s_addc_u32 s19, s19, 0
	s_add_u32 s20, s20, 1
	s_addc_u32 s21, s21, 0
	v_or_b32_e32 v20, v2, v20
	s_cmp_lg_u32 s23, 0
	v_or_b32_e32 v21, v3, v21
	s_cbranch_scc1 .LBB6_627
	s_branch .LBB6_630
.LBB6_628:                              ;   in Loop: Header=BB6_577 Depth=1
	s_branch .LBB6_631
.LBB6_629:                              ;   in Loop: Header=BB6_577 Depth=1
	v_mov_b32_e32 v20, 0
	v_mov_b32_e32 v21, 0
.LBB6_630:                              ;   in Loop: Header=BB6_577 Depth=1
	s_cbranch_execnz .LBB6_632
.LBB6_631:                              ;   in Loop: Header=BB6_577 Depth=1
	global_load_dwordx2 v[20:21], v26, s[4:5]
.LBB6_632:                              ;   in Loop: Header=BB6_577 Depth=1
	v_readfirstlane_b32 s4, v32
	v_mov_b32_e32 v2, 0
	v_mov_b32_e32 v3, 0
	v_cmp_eq_u32_e64 s[4:5], s4, v32
	s_and_saveexec_b64 s[18:19], s[4:5]
	s_cbranch_execz .LBB6_638
; %bb.633:                              ;   in Loop: Header=BB6_577 Depth=1
	global_load_dwordx2 v[24:25], v26, s[6:7] offset:24 glc
	s_waitcnt vmcnt(0)
	buffer_wbinvl1_vol
	global_load_dwordx2 v[2:3], v26, s[6:7] offset:40
	global_load_dwordx2 v[22:23], v26, s[6:7]
	s_waitcnt vmcnt(1)
	v_and_b32_e32 v2, v2, v24
	v_and_b32_e32 v3, v3, v25
	v_mul_lo_u32 v3, v3, 24
	v_mul_hi_u32 v27, v2, 24
	v_mul_lo_u32 v2, v2, 24
	v_add_u32_e32 v3, v27, v3
	s_waitcnt vmcnt(0)
	v_add_co_u32_e32 v2, vcc, v22, v2
	v_addc_co_u32_e32 v3, vcc, v23, v3, vcc
	global_load_dwordx2 v[22:23], v[2:3], off glc
	s_waitcnt vmcnt(0)
	global_atomic_cmpswap_x2 v[2:3], v26, v[22:25], s[6:7] offset:24 glc
	s_waitcnt vmcnt(0)
	buffer_wbinvl1_vol
	v_cmp_ne_u64_e32 vcc, v[2:3], v[24:25]
	s_and_saveexec_b64 s[20:21], vcc
	s_cbranch_execz .LBB6_637
; %bb.634:                              ;   in Loop: Header=BB6_577 Depth=1
	s_mov_b64 s[22:23], 0
.LBB6_635:                              ;   Parent Loop BB6_577 Depth=1
                                        ; =>  This Inner Loop Header: Depth=2
	s_sleep 1
	global_load_dwordx2 v[22:23], v26, s[6:7] offset:40
	global_load_dwordx2 v[27:28], v26, s[6:7]
	v_mov_b32_e32 v25, v3
	v_mov_b32_e32 v24, v2
	s_waitcnt vmcnt(1)
	v_and_b32_e32 v2, v22, v24
	s_waitcnt vmcnt(0)
	v_mad_u64_u32 v[2:3], s[24:25], v2, 24, v[27:28]
	v_and_b32_e32 v22, v23, v25
	v_mad_u64_u32 v[22:23], s[24:25], v22, 24, v[3:4]
	v_mov_b32_e32 v3, v22
	global_load_dwordx2 v[22:23], v[2:3], off glc
	s_waitcnt vmcnt(0)
	global_atomic_cmpswap_x2 v[2:3], v26, v[22:25], s[6:7] offset:24 glc
	s_waitcnt vmcnt(0)
	buffer_wbinvl1_vol
	v_cmp_eq_u64_e32 vcc, v[2:3], v[24:25]
	s_or_b64 s[22:23], vcc, s[22:23]
	s_andn2_b64 exec, exec, s[22:23]
	s_cbranch_execnz .LBB6_635
; %bb.636:                              ;   in Loop: Header=BB6_577 Depth=1
	s_or_b64 exec, exec, s[22:23]
.LBB6_637:                              ;   in Loop: Header=BB6_577 Depth=1
	s_or_b64 exec, exec, s[20:21]
.LBB6_638:                              ;   in Loop: Header=BB6_577 Depth=1
	s_or_b64 exec, exec, s[18:19]
	global_load_dwordx2 v[27:28], v26, s[6:7] offset:40
	global_load_dwordx4 v[22:25], v26, s[6:7]
	v_readfirstlane_b32 s18, v2
	v_readfirstlane_b32 s19, v3
	s_mov_b64 s[20:21], exec
	s_waitcnt vmcnt(1)
	v_readfirstlane_b32 s22, v27
	v_readfirstlane_b32 s23, v28
	s_and_b64 s[22:23], s[18:19], s[22:23]
	s_mul_i32 s24, s23, 24
	s_mul_hi_u32 s25, s22, 24
	s_mul_i32 s26, s22, 24
	s_add_i32 s24, s25, s24
	v_mov_b32_e32 v2, s24
	s_waitcnt vmcnt(0)
	v_add_co_u32_e32 v27, vcc, s26, v22
	v_addc_co_u32_e32 v28, vcc, v23, v2, vcc
	s_and_saveexec_b64 s[24:25], s[4:5]
	s_cbranch_execz .LBB6_640
; %bb.639:                              ;   in Loop: Header=BB6_577 Depth=1
	v_mov_b32_e32 v2, s20
	v_mov_b32_e32 v3, s21
	global_store_dwordx4 v[27:28], v[2:5], off offset:8
.LBB6_640:                              ;   in Loop: Header=BB6_577 Depth=1
	s_or_b64 exec, exec, s[24:25]
	s_lshl_b64 s[20:21], s[22:23], 12
	v_mov_b32_e32 v2, s21
	v_add_co_u32_e32 v24, vcc, s20, v24
	v_addc_co_u32_e32 v29, vcc, v25, v2, vcc
	v_cmp_gt_u64_e64 vcc, s[14:15], 56
	v_or_b32_e32 v2, 2, v6
	s_lshl_b32 s20, s16, 2
	v_cndmask_b32_e32 v2, v2, v6, vcc
	s_add_i32 s20, s20, 28
	s_and_b32 s20, s20, 0x1e0
	v_and_b32_e32 v2, 0xffffff1f, v2
	v_or_b32_e32 v6, s20, v2
	v_readfirstlane_b32 s20, v24
	v_readfirstlane_b32 s21, v29
	s_nop 4
	global_store_dwordx4 v31, v[6:9], s[20:21]
	global_store_dwordx4 v31, v[10:13], s[20:21] offset:16
	global_store_dwordx4 v31, v[14:17], s[20:21] offset:32
	;; [unrolled: 1-line block ×3, first 2 shown]
	s_and_saveexec_b64 s[20:21], s[4:5]
	s_cbranch_execz .LBB6_648
; %bb.641:                              ;   in Loop: Header=BB6_577 Depth=1
	global_load_dwordx2 v[10:11], v26, s[6:7] offset:32 glc
	global_load_dwordx2 v[2:3], v26, s[6:7] offset:40
	v_mov_b32_e32 v8, s18
	v_mov_b32_e32 v9, s19
	s_waitcnt vmcnt(0)
	v_readfirstlane_b32 s22, v2
	v_readfirstlane_b32 s23, v3
	s_and_b64 s[22:23], s[22:23], s[18:19]
	s_mul_i32 s23, s23, 24
	s_mul_hi_u32 s24, s22, 24
	s_mul_i32 s22, s22, 24
	s_add_i32 s23, s24, s23
	v_mov_b32_e32 v3, s23
	v_add_co_u32_e32 v2, vcc, s22, v22
	v_addc_co_u32_e32 v3, vcc, v23, v3, vcc
	global_store_dwordx2 v[2:3], v[10:11], off
	s_waitcnt vmcnt(0)
	global_atomic_cmpswap_x2 v[8:9], v26, v[8:11], s[6:7] offset:32 glc
	s_waitcnt vmcnt(0)
	v_cmp_ne_u64_e32 vcc, v[8:9], v[10:11]
	s_and_saveexec_b64 s[22:23], vcc
	s_cbranch_execz .LBB6_644
; %bb.642:                              ;   in Loop: Header=BB6_577 Depth=1
	s_mov_b64 s[24:25], 0
.LBB6_643:                              ;   Parent Loop BB6_577 Depth=1
                                        ; =>  This Inner Loop Header: Depth=2
	s_sleep 1
	global_store_dwordx2 v[2:3], v[8:9], off
	v_mov_b32_e32 v6, s18
	v_mov_b32_e32 v7, s19
	s_waitcnt vmcnt(0)
	global_atomic_cmpswap_x2 v[6:7], v26, v[6:9], s[6:7] offset:32 glc
	s_waitcnt vmcnt(0)
	v_cmp_eq_u64_e32 vcc, v[6:7], v[8:9]
	v_mov_b32_e32 v9, v7
	s_or_b64 s[24:25], vcc, s[24:25]
	v_mov_b32_e32 v8, v6
	s_andn2_b64 exec, exec, s[24:25]
	s_cbranch_execnz .LBB6_643
.LBB6_644:                              ;   in Loop: Header=BB6_577 Depth=1
	s_or_b64 exec, exec, s[22:23]
	global_load_dwordx2 v[2:3], v26, s[6:7] offset:16
	s_mov_b64 s[24:25], exec
	v_mbcnt_lo_u32_b32 v6, s24, 0
	v_mbcnt_hi_u32_b32 v6, s25, v6
	v_cmp_eq_u32_e32 vcc, 0, v6
	s_and_saveexec_b64 s[22:23], vcc
	s_cbranch_execz .LBB6_646
; %bb.645:                              ;   in Loop: Header=BB6_577 Depth=1
	s_bcnt1_i32_b64 s24, s[24:25]
	v_mov_b32_e32 v25, s24
	s_waitcnt vmcnt(0)
	global_atomic_add_x2 v[2:3], v[25:26], off offset:8
.LBB6_646:                              ;   in Loop: Header=BB6_577 Depth=1
	s_or_b64 exec, exec, s[22:23]
	s_waitcnt vmcnt(0)
	global_load_dwordx2 v[6:7], v[2:3], off offset:16
	s_waitcnt vmcnt(0)
	v_cmp_eq_u64_e32 vcc, 0, v[6:7]
	s_cbranch_vccnz .LBB6_648
; %bb.647:                              ;   in Loop: Header=BB6_577 Depth=1
	global_load_dword v25, v[2:3], off offset:24
	s_waitcnt vmcnt(0)
	v_and_b32_e32 v2, 0xffffff, v25
	v_readfirstlane_b32 m0, v2
	global_store_dwordx2 v[6:7], v[25:26], off
	s_sendmsg sendmsg(MSG_INTERRUPT)
.LBB6_648:                              ;   in Loop: Header=BB6_577 Depth=1
	s_or_b64 exec, exec, s[20:21]
	v_add_co_u32_e32 v2, vcc, v24, v31
	v_addc_co_u32_e32 v3, vcc, 0, v29, vcc
	s_branch .LBB6_652
.LBB6_649:                              ;   in Loop: Header=BB6_652 Depth=2
	s_or_b64 exec, exec, s[20:21]
	v_readfirstlane_b32 s20, v6
	s_cmp_eq_u32 s20, 0
	s_cbranch_scc1 .LBB6_651
; %bb.650:                              ;   in Loop: Header=BB6_652 Depth=2
	s_sleep 1
	s_cbranch_execnz .LBB6_652
	s_branch .LBB6_654
.LBB6_651:                              ;   in Loop: Header=BB6_577 Depth=1
	s_branch .LBB6_654
.LBB6_652:                              ;   Parent Loop BB6_577 Depth=1
                                        ; =>  This Inner Loop Header: Depth=2
	v_mov_b32_e32 v6, 1
	s_and_saveexec_b64 s[20:21], s[4:5]
	s_cbranch_execz .LBB6_649
; %bb.653:                              ;   in Loop: Header=BB6_652 Depth=2
	global_load_dword v6, v[27:28], off offset:20 glc
	s_waitcnt vmcnt(0)
	buffer_wbinvl1_vol
	v_and_b32_e32 v6, 1, v6
	s_branch .LBB6_649
.LBB6_654:                              ;   in Loop: Header=BB6_577 Depth=1
	global_load_dwordx4 v[6:9], v[2:3], off
	s_and_saveexec_b64 s[20:21], s[4:5]
	s_cbranch_execz .LBB6_576
; %bb.655:                              ;   in Loop: Header=BB6_577 Depth=1
	global_load_dwordx2 v[2:3], v26, s[6:7] offset:40
	global_load_dwordx2 v[12:13], v26, s[6:7] offset:24 glc
	global_load_dwordx2 v[14:15], v26, s[6:7]
	s_waitcnt vmcnt(3)
	v_mov_b32_e32 v9, s19
	s_waitcnt vmcnt(2)
	v_add_co_u32_e32 v10, vcc, 1, v2
	v_addc_co_u32_e32 v11, vcc, 0, v3, vcc
	v_add_co_u32_e32 v8, vcc, s18, v10
	v_addc_co_u32_e32 v9, vcc, v11, v9, vcc
	v_cmp_eq_u64_e32 vcc, 0, v[8:9]
	v_cndmask_b32_e32 v9, v9, v11, vcc
	v_cndmask_b32_e32 v8, v8, v10, vcc
	v_and_b32_e32 v3, v9, v3
	v_and_b32_e32 v2, v8, v2
	v_mul_lo_u32 v3, v3, 24
	v_mul_hi_u32 v11, v2, 24
	v_mul_lo_u32 v2, v2, 24
	s_waitcnt vmcnt(1)
	v_mov_b32_e32 v10, v12
	v_add_u32_e32 v3, v11, v3
	s_waitcnt vmcnt(0)
	v_add_co_u32_e32 v2, vcc, v14, v2
	v_addc_co_u32_e32 v3, vcc, v15, v3, vcc
	global_store_dwordx2 v[2:3], v[12:13], off
	v_mov_b32_e32 v11, v13
	s_waitcnt vmcnt(0)
	global_atomic_cmpswap_x2 v[10:11], v26, v[8:11], s[6:7] offset:24 glc
	s_waitcnt vmcnt(0)
	v_cmp_ne_u64_e32 vcc, v[10:11], v[12:13]
	s_and_b64 exec, exec, vcc
	s_cbranch_execz .LBB6_576
; %bb.656:                              ;   in Loop: Header=BB6_577 Depth=1
	s_mov_b64 s[4:5], 0
.LBB6_657:                              ;   Parent Loop BB6_577 Depth=1
                                        ; =>  This Inner Loop Header: Depth=2
	s_sleep 1
	global_store_dwordx2 v[2:3], v[10:11], off
	s_waitcnt vmcnt(0)
	global_atomic_cmpswap_x2 v[12:13], v26, v[8:11], s[6:7] offset:24 glc
	s_waitcnt vmcnt(0)
	v_cmp_eq_u64_e32 vcc, v[12:13], v[10:11]
	v_mov_b32_e32 v10, v12
	s_or_b64 s[4:5], vcc, s[4:5]
	v_mov_b32_e32 v11, v13
	s_andn2_b64 exec, exec, s[4:5]
	s_cbranch_execnz .LBB6_657
	s_branch .LBB6_576
.LBB6_658:
	s_branch .LBB6_686
.LBB6_659:
	s_cbranch_execz .LBB6_686
; %bb.660:
	v_readfirstlane_b32 s4, v32
	s_waitcnt vmcnt(0)
	v_mov_b32_e32 v8, 0
	v_mov_b32_e32 v9, 0
	v_cmp_eq_u32_e64 s[4:5], s4, v32
	s_and_saveexec_b64 s[12:13], s[4:5]
	s_cbranch_execz .LBB6_666
; %bb.661:
	v_mov_b32_e32 v2, 0
	global_load_dwordx2 v[5:6], v2, s[6:7] offset:24 glc
	s_waitcnt vmcnt(0)
	buffer_wbinvl1_vol
	global_load_dwordx2 v[3:4], v2, s[6:7] offset:40
	global_load_dwordx2 v[7:8], v2, s[6:7]
	s_waitcnt vmcnt(1)
	v_and_b32_e32 v3, v3, v5
	v_and_b32_e32 v4, v4, v6
	v_mul_lo_u32 v4, v4, 24
	v_mul_hi_u32 v9, v3, 24
	v_mul_lo_u32 v3, v3, 24
	v_add_u32_e32 v4, v9, v4
	s_waitcnt vmcnt(0)
	v_add_co_u32_e32 v3, vcc, v7, v3
	v_addc_co_u32_e32 v4, vcc, v8, v4, vcc
	global_load_dwordx2 v[3:4], v[3:4], off glc
	s_waitcnt vmcnt(0)
	global_atomic_cmpswap_x2 v[8:9], v2, v[3:6], s[6:7] offset:24 glc
	s_waitcnt vmcnt(0)
	buffer_wbinvl1_vol
	v_cmp_ne_u64_e32 vcc, v[8:9], v[5:6]
	s_and_saveexec_b64 s[14:15], vcc
	s_cbranch_execz .LBB6_665
; %bb.662:
	s_mov_b64 s[16:17], 0
.LBB6_663:                              ; =>This Inner Loop Header: Depth=1
	s_sleep 1
	global_load_dwordx2 v[3:4], v2, s[6:7] offset:40
	global_load_dwordx2 v[10:11], v2, s[6:7]
	v_mov_b32_e32 v5, v8
	v_mov_b32_e32 v6, v9
	s_waitcnt vmcnt(1)
	v_and_b32_e32 v3, v3, v5
	s_waitcnt vmcnt(0)
	v_mad_u64_u32 v[7:8], s[18:19], v3, 24, v[10:11]
	v_and_b32_e32 v4, v4, v6
	v_mov_b32_e32 v3, v8
	v_mad_u64_u32 v[3:4], s[18:19], v4, 24, v[3:4]
	v_mov_b32_e32 v8, v3
	global_load_dwordx2 v[3:4], v[7:8], off glc
	s_waitcnt vmcnt(0)
	global_atomic_cmpswap_x2 v[8:9], v2, v[3:6], s[6:7] offset:24 glc
	s_waitcnt vmcnt(0)
	buffer_wbinvl1_vol
	v_cmp_eq_u64_e32 vcc, v[8:9], v[5:6]
	s_or_b64 s[16:17], vcc, s[16:17]
	s_andn2_b64 exec, exec, s[16:17]
	s_cbranch_execnz .LBB6_663
; %bb.664:
	s_or_b64 exec, exec, s[16:17]
.LBB6_665:
	s_or_b64 exec, exec, s[14:15]
.LBB6_666:
	s_or_b64 exec, exec, s[12:13]
	v_mov_b32_e32 v2, 0
	global_load_dwordx2 v[10:11], v2, s[6:7] offset:40
	global_load_dwordx4 v[4:7], v2, s[6:7]
	v_readfirstlane_b32 s12, v8
	v_readfirstlane_b32 s13, v9
	s_mov_b64 s[14:15], exec
	s_waitcnt vmcnt(1)
	v_readfirstlane_b32 s16, v10
	v_readfirstlane_b32 s17, v11
	s_and_b64 s[16:17], s[12:13], s[16:17]
	s_mul_i32 s18, s17, 24
	s_mul_hi_u32 s19, s16, 24
	s_mul_i32 s20, s16, 24
	s_add_i32 s18, s19, s18
	v_mov_b32_e32 v3, s18
	s_waitcnt vmcnt(0)
	v_add_co_u32_e32 v8, vcc, s20, v4
	v_addc_co_u32_e32 v9, vcc, v5, v3, vcc
	s_and_saveexec_b64 s[18:19], s[4:5]
	s_cbranch_execz .LBB6_668
; %bb.667:
	v_mov_b32_e32 v10, s14
	v_mov_b32_e32 v11, s15
	;; [unrolled: 1-line block ×4, first 2 shown]
	global_store_dwordx4 v[8:9], v[10:13], off offset:8
.LBB6_668:
	s_or_b64 exec, exec, s[18:19]
	s_lshl_b64 s[14:15], s[16:17], 12
	v_mov_b32_e32 v3, s15
	v_add_co_u32_e32 v6, vcc, s14, v6
	v_addc_co_u32_e32 v7, vcc, v7, v3, vcc
	s_movk_i32 s14, 0xff1d
	v_and_or_b32 v0, v0, s14, 34
	s_mov_b32 s16, 0
	v_mov_b32_e32 v3, v2
	v_readfirstlane_b32 s14, v6
	v_readfirstlane_b32 s15, v7
	s_mov_b32 s17, s16
	s_mov_b32 s18, s16
	;; [unrolled: 1-line block ×3, first 2 shown]
	s_nop 1
	global_store_dwordx4 v31, v[0:3], s[14:15]
	s_nop 0
	v_mov_b32_e32 v0, s16
	v_mov_b32_e32 v1, s17
	;; [unrolled: 1-line block ×4, first 2 shown]
	global_store_dwordx4 v31, v[0:3], s[14:15] offset:16
	global_store_dwordx4 v31, v[0:3], s[14:15] offset:32
	;; [unrolled: 1-line block ×3, first 2 shown]
	s_and_saveexec_b64 s[14:15], s[4:5]
	s_cbranch_execz .LBB6_676
; %bb.669:
	v_mov_b32_e32 v6, 0
	global_load_dwordx2 v[12:13], v6, s[6:7] offset:32 glc
	global_load_dwordx2 v[0:1], v6, s[6:7] offset:40
	v_mov_b32_e32 v10, s12
	v_mov_b32_e32 v11, s13
	s_waitcnt vmcnt(0)
	v_readfirstlane_b32 s16, v0
	v_readfirstlane_b32 s17, v1
	s_and_b64 s[16:17], s[16:17], s[12:13]
	s_mul_i32 s17, s17, 24
	s_mul_hi_u32 s18, s16, 24
	s_mul_i32 s16, s16, 24
	s_add_i32 s17, s18, s17
	v_mov_b32_e32 v0, s17
	v_add_co_u32_e32 v4, vcc, s16, v4
	v_addc_co_u32_e32 v5, vcc, v5, v0, vcc
	global_store_dwordx2 v[4:5], v[12:13], off
	s_waitcnt vmcnt(0)
	global_atomic_cmpswap_x2 v[2:3], v6, v[10:13], s[6:7] offset:32 glc
	s_waitcnt vmcnt(0)
	v_cmp_ne_u64_e32 vcc, v[2:3], v[12:13]
	s_and_saveexec_b64 s[16:17], vcc
	s_cbranch_execz .LBB6_672
; %bb.670:
	s_mov_b64 s[18:19], 0
.LBB6_671:                              ; =>This Inner Loop Header: Depth=1
	s_sleep 1
	global_store_dwordx2 v[4:5], v[2:3], off
	v_mov_b32_e32 v0, s12
	v_mov_b32_e32 v1, s13
	s_waitcnt vmcnt(0)
	global_atomic_cmpswap_x2 v[0:1], v6, v[0:3], s[6:7] offset:32 glc
	s_waitcnt vmcnt(0)
	v_cmp_eq_u64_e32 vcc, v[0:1], v[2:3]
	v_mov_b32_e32 v3, v1
	s_or_b64 s[18:19], vcc, s[18:19]
	v_mov_b32_e32 v2, v0
	s_andn2_b64 exec, exec, s[18:19]
	s_cbranch_execnz .LBB6_671
.LBB6_672:
	s_or_b64 exec, exec, s[16:17]
	v_mov_b32_e32 v3, 0
	global_load_dwordx2 v[0:1], v3, s[6:7] offset:16
	s_mov_b64 s[16:17], exec
	v_mbcnt_lo_u32_b32 v2, s16, 0
	v_mbcnt_hi_u32_b32 v2, s17, v2
	v_cmp_eq_u32_e32 vcc, 0, v2
	s_and_saveexec_b64 s[18:19], vcc
	s_cbranch_execz .LBB6_674
; %bb.673:
	s_bcnt1_i32_b64 s16, s[16:17]
	v_mov_b32_e32 v2, s16
	s_waitcnt vmcnt(0)
	global_atomic_add_x2 v[0:1], v[2:3], off offset:8
.LBB6_674:
	s_or_b64 exec, exec, s[18:19]
	s_waitcnt vmcnt(0)
	global_load_dwordx2 v[2:3], v[0:1], off offset:16
	s_waitcnt vmcnt(0)
	v_cmp_eq_u64_e32 vcc, 0, v[2:3]
	s_cbranch_vccnz .LBB6_676
; %bb.675:
	global_load_dword v0, v[0:1], off offset:24
	v_mov_b32_e32 v1, 0
	s_waitcnt vmcnt(0)
	global_store_dwordx2 v[2:3], v[0:1], off
	v_and_b32_e32 v0, 0xffffff, v0
	v_readfirstlane_b32 m0, v0
	s_sendmsg sendmsg(MSG_INTERRUPT)
.LBB6_676:
	s_or_b64 exec, exec, s[14:15]
	s_branch .LBB6_680
.LBB6_677:                              ;   in Loop: Header=BB6_680 Depth=1
	s_or_b64 exec, exec, s[14:15]
	v_readfirstlane_b32 s14, v0
	s_cmp_eq_u32 s14, 0
	s_cbranch_scc1 .LBB6_679
; %bb.678:                              ;   in Loop: Header=BB6_680 Depth=1
	s_sleep 1
	s_cbranch_execnz .LBB6_680
	s_branch .LBB6_682
.LBB6_679:
	s_branch .LBB6_682
.LBB6_680:                              ; =>This Inner Loop Header: Depth=1
	v_mov_b32_e32 v0, 1
	s_and_saveexec_b64 s[14:15], s[4:5]
	s_cbranch_execz .LBB6_677
; %bb.681:                              ;   in Loop: Header=BB6_680 Depth=1
	global_load_dword v0, v[8:9], off offset:20 glc
	s_waitcnt vmcnt(0)
	buffer_wbinvl1_vol
	v_and_b32_e32 v0, 1, v0
	s_branch .LBB6_677
.LBB6_682:
	s_and_saveexec_b64 s[14:15], s[4:5]
	s_cbranch_execz .LBB6_685
; %bb.683:
	v_mov_b32_e32 v6, 0
	global_load_dwordx2 v[2:3], v6, s[6:7] offset:40
	global_load_dwordx2 v[7:8], v6, s[6:7] offset:24 glc
	global_load_dwordx2 v[4:5], v6, s[6:7]
	v_mov_b32_e32 v1, s13
	s_mov_b64 s[4:5], 0
	s_waitcnt vmcnt(2)
	v_add_co_u32_e32 v9, vcc, 1, v2
	v_addc_co_u32_e32 v10, vcc, 0, v3, vcc
	v_add_co_u32_e32 v0, vcc, s12, v9
	v_addc_co_u32_e32 v1, vcc, v10, v1, vcc
	v_cmp_eq_u64_e32 vcc, 0, v[0:1]
	v_cndmask_b32_e32 v1, v1, v10, vcc
	v_cndmask_b32_e32 v0, v0, v9, vcc
	v_and_b32_e32 v3, v1, v3
	v_and_b32_e32 v2, v0, v2
	v_mul_lo_u32 v3, v3, 24
	v_mul_hi_u32 v9, v2, 24
	v_mul_lo_u32 v10, v2, 24
	s_waitcnt vmcnt(1)
	v_mov_b32_e32 v2, v7
	v_add_u32_e32 v3, v9, v3
	s_waitcnt vmcnt(0)
	v_add_co_u32_e32 v4, vcc, v4, v10
	v_addc_co_u32_e32 v5, vcc, v5, v3, vcc
	global_store_dwordx2 v[4:5], v[7:8], off
	v_mov_b32_e32 v3, v8
	s_waitcnt vmcnt(0)
	global_atomic_cmpswap_x2 v[2:3], v6, v[0:3], s[6:7] offset:24 glc
	s_waitcnt vmcnt(0)
	v_cmp_ne_u64_e32 vcc, v[2:3], v[7:8]
	s_and_b64 exec, exec, vcc
	s_cbranch_execz .LBB6_685
.LBB6_684:                              ; =>This Inner Loop Header: Depth=1
	s_sleep 1
	global_store_dwordx2 v[4:5], v[2:3], off
	s_waitcnt vmcnt(0)
	global_atomic_cmpswap_x2 v[7:8], v6, v[0:3], s[6:7] offset:24 glc
	s_waitcnt vmcnt(0)
	v_cmp_eq_u64_e32 vcc, v[7:8], v[2:3]
	v_mov_b32_e32 v2, v7
	s_or_b64 s[4:5], vcc, s[4:5]
	v_mov_b32_e32 v3, v8
	s_andn2_b64 exec, exec, s[4:5]
	s_cbranch_execnz .LBB6_684
.LBB6_685:
	s_or_b64 exec, exec, s[14:15]
.LBB6_686:
	v_readfirstlane_b32 s4, v32
	s_waitcnt vmcnt(0)
	v_mov_b32_e32 v5, 0
	v_mov_b32_e32 v6, 0
	v_cmp_eq_u32_e64 s[4:5], s4, v32
	s_and_saveexec_b64 s[12:13], s[4:5]
	s_cbranch_execz .LBB6_692
; %bb.687:
	v_mov_b32_e32 v0, 0
	global_load_dwordx2 v[3:4], v0, s[6:7] offset:24 glc
	s_waitcnt vmcnt(0)
	buffer_wbinvl1_vol
	global_load_dwordx2 v[1:2], v0, s[6:7] offset:40
	global_load_dwordx2 v[5:6], v0, s[6:7]
	s_waitcnt vmcnt(1)
	v_and_b32_e32 v1, v1, v3
	v_and_b32_e32 v2, v2, v4
	v_mul_lo_u32 v2, v2, 24
	v_mul_hi_u32 v7, v1, 24
	v_mul_lo_u32 v1, v1, 24
	v_add_u32_e32 v2, v7, v2
	s_waitcnt vmcnt(0)
	v_add_co_u32_e32 v1, vcc, v5, v1
	v_addc_co_u32_e32 v2, vcc, v6, v2, vcc
	global_load_dwordx2 v[1:2], v[1:2], off glc
	s_waitcnt vmcnt(0)
	global_atomic_cmpswap_x2 v[5:6], v0, v[1:4], s[6:7] offset:24 glc
	s_waitcnt vmcnt(0)
	buffer_wbinvl1_vol
	v_cmp_ne_u64_e32 vcc, v[5:6], v[3:4]
	s_and_saveexec_b64 s[14:15], vcc
	s_cbranch_execz .LBB6_691
; %bb.688:
	s_mov_b64 s[16:17], 0
.LBB6_689:                              ; =>This Inner Loop Header: Depth=1
	s_sleep 1
	global_load_dwordx2 v[1:2], v0, s[6:7] offset:40
	global_load_dwordx2 v[7:8], v0, s[6:7]
	v_mov_b32_e32 v3, v5
	v_mov_b32_e32 v4, v6
	s_waitcnt vmcnt(1)
	v_and_b32_e32 v1, v1, v3
	s_waitcnt vmcnt(0)
	v_mad_u64_u32 v[5:6], s[18:19], v1, 24, v[7:8]
	v_and_b32_e32 v2, v2, v4
	v_mov_b32_e32 v1, v6
	v_mad_u64_u32 v[1:2], s[18:19], v2, 24, v[1:2]
	v_mov_b32_e32 v6, v1
	global_load_dwordx2 v[1:2], v[5:6], off glc
	s_waitcnt vmcnt(0)
	global_atomic_cmpswap_x2 v[5:6], v0, v[1:4], s[6:7] offset:24 glc
	s_waitcnt vmcnt(0)
	buffer_wbinvl1_vol
	v_cmp_eq_u64_e32 vcc, v[5:6], v[3:4]
	s_or_b64 s[16:17], vcc, s[16:17]
	s_andn2_b64 exec, exec, s[16:17]
	s_cbranch_execnz .LBB6_689
; %bb.690:
	s_or_b64 exec, exec, s[16:17]
.LBB6_691:
	s_or_b64 exec, exec, s[14:15]
.LBB6_692:
	s_or_b64 exec, exec, s[12:13]
	v_mov_b32_e32 v4, 0
	global_load_dwordx2 v[7:8], v4, s[6:7] offset:40
	global_load_dwordx4 v[0:3], v4, s[6:7]
	v_readfirstlane_b32 s12, v5
	v_readfirstlane_b32 s13, v6
	s_mov_b64 s[14:15], exec
	s_waitcnt vmcnt(1)
	v_readfirstlane_b32 s16, v7
	v_readfirstlane_b32 s17, v8
	s_and_b64 s[16:17], s[12:13], s[16:17]
	s_mul_i32 s18, s17, 24
	s_mul_hi_u32 s19, s16, 24
	s_mul_i32 s20, s16, 24
	s_add_i32 s18, s19, s18
	v_mov_b32_e32 v5, s18
	s_waitcnt vmcnt(0)
	v_add_co_u32_e32 v7, vcc, s20, v0
	v_addc_co_u32_e32 v8, vcc, v1, v5, vcc
	s_and_saveexec_b64 s[18:19], s[4:5]
	s_cbranch_execz .LBB6_694
; %bb.693:
	v_mov_b32_e32 v9, s14
	v_mov_b32_e32 v10, s15
	;; [unrolled: 1-line block ×4, first 2 shown]
	global_store_dwordx4 v[7:8], v[9:12], off offset:8
.LBB6_694:
	s_or_b64 exec, exec, s[18:19]
	s_lshl_b64 s[14:15], s[16:17], 12
	v_mov_b32_e32 v5, s15
	v_add_co_u32_e32 v2, vcc, s14, v2
	v_addc_co_u32_e32 v11, vcc, v3, v5, vcc
	s_mov_b32 s16, 0
	v_mov_b32_e32 v3, 33
	v_mov_b32_e32 v5, v4
	;; [unrolled: 1-line block ×3, first 2 shown]
	v_readfirstlane_b32 s14, v2
	v_readfirstlane_b32 s15, v11
	v_add_co_u32_e32 v9, vcc, v2, v31
	s_mov_b32 s17, s16
	s_mov_b32 s18, s16
	;; [unrolled: 1-line block ×3, first 2 shown]
	s_nop 0
	global_store_dwordx4 v31, v[3:6], s[14:15]
	v_mov_b32_e32 v2, s16
	v_addc_co_u32_e32 v10, vcc, 0, v11, vcc
	v_mov_b32_e32 v3, s17
	v_mov_b32_e32 v4, s18
	;; [unrolled: 1-line block ×3, first 2 shown]
	global_store_dwordx4 v31, v[2:5], s[14:15] offset:16
	global_store_dwordx4 v31, v[2:5], s[14:15] offset:32
	;; [unrolled: 1-line block ×3, first 2 shown]
	s_and_saveexec_b64 s[14:15], s[4:5]
	s_cbranch_execz .LBB6_702
; %bb.695:
	v_mov_b32_e32 v6, 0
	global_load_dwordx2 v[13:14], v6, s[6:7] offset:32 glc
	global_load_dwordx2 v[2:3], v6, s[6:7] offset:40
	v_mov_b32_e32 v11, s12
	v_mov_b32_e32 v12, s13
	s_waitcnt vmcnt(0)
	v_readfirstlane_b32 s16, v2
	v_readfirstlane_b32 s17, v3
	s_and_b64 s[16:17], s[16:17], s[12:13]
	s_mul_i32 s17, s17, 24
	s_mul_hi_u32 s18, s16, 24
	s_mul_i32 s16, s16, 24
	s_add_i32 s17, s18, s17
	v_mov_b32_e32 v2, s17
	v_add_co_u32_e32 v4, vcc, s16, v0
	v_addc_co_u32_e32 v5, vcc, v1, v2, vcc
	global_store_dwordx2 v[4:5], v[13:14], off
	s_waitcnt vmcnt(0)
	global_atomic_cmpswap_x2 v[2:3], v6, v[11:14], s[6:7] offset:32 glc
	s_waitcnt vmcnt(0)
	v_cmp_ne_u64_e32 vcc, v[2:3], v[13:14]
	s_and_saveexec_b64 s[16:17], vcc
	s_cbranch_execz .LBB6_698
; %bb.696:
	s_mov_b64 s[18:19], 0
.LBB6_697:                              ; =>This Inner Loop Header: Depth=1
	s_sleep 1
	global_store_dwordx2 v[4:5], v[2:3], off
	v_mov_b32_e32 v0, s12
	v_mov_b32_e32 v1, s13
	s_waitcnt vmcnt(0)
	global_atomic_cmpswap_x2 v[0:1], v6, v[0:3], s[6:7] offset:32 glc
	s_waitcnt vmcnt(0)
	v_cmp_eq_u64_e32 vcc, v[0:1], v[2:3]
	v_mov_b32_e32 v3, v1
	s_or_b64 s[18:19], vcc, s[18:19]
	v_mov_b32_e32 v2, v0
	s_andn2_b64 exec, exec, s[18:19]
	s_cbranch_execnz .LBB6_697
.LBB6_698:
	s_or_b64 exec, exec, s[16:17]
	v_mov_b32_e32 v3, 0
	global_load_dwordx2 v[0:1], v3, s[6:7] offset:16
	s_mov_b64 s[16:17], exec
	v_mbcnt_lo_u32_b32 v2, s16, 0
	v_mbcnt_hi_u32_b32 v2, s17, v2
	v_cmp_eq_u32_e32 vcc, 0, v2
	s_and_saveexec_b64 s[18:19], vcc
	s_cbranch_execz .LBB6_700
; %bb.699:
	s_bcnt1_i32_b64 s16, s[16:17]
	v_mov_b32_e32 v2, s16
	s_waitcnt vmcnt(0)
	global_atomic_add_x2 v[0:1], v[2:3], off offset:8
.LBB6_700:
	s_or_b64 exec, exec, s[18:19]
	s_waitcnt vmcnt(0)
	global_load_dwordx2 v[2:3], v[0:1], off offset:16
	s_waitcnt vmcnt(0)
	v_cmp_eq_u64_e32 vcc, 0, v[2:3]
	s_cbranch_vccnz .LBB6_702
; %bb.701:
	global_load_dword v0, v[0:1], off offset:24
	v_mov_b32_e32 v1, 0
	s_waitcnt vmcnt(0)
	global_store_dwordx2 v[2:3], v[0:1], off
	v_and_b32_e32 v0, 0xffffff, v0
	v_readfirstlane_b32 m0, v0
	s_sendmsg sendmsg(MSG_INTERRUPT)
.LBB6_702:
	s_or_b64 exec, exec, s[14:15]
	s_branch .LBB6_706
.LBB6_703:                              ;   in Loop: Header=BB6_706 Depth=1
	s_or_b64 exec, exec, s[14:15]
	v_readfirstlane_b32 s14, v0
	s_cmp_eq_u32 s14, 0
	s_cbranch_scc1 .LBB6_705
; %bb.704:                              ;   in Loop: Header=BB6_706 Depth=1
	s_sleep 1
	s_cbranch_execnz .LBB6_706
	s_branch .LBB6_708
.LBB6_705:
	s_branch .LBB6_708
.LBB6_706:                              ; =>This Inner Loop Header: Depth=1
	v_mov_b32_e32 v0, 1
	s_and_saveexec_b64 s[14:15], s[4:5]
	s_cbranch_execz .LBB6_703
; %bb.707:                              ;   in Loop: Header=BB6_706 Depth=1
	global_load_dword v0, v[7:8], off offset:20 glc
	s_waitcnt vmcnt(0)
	buffer_wbinvl1_vol
	v_and_b32_e32 v0, 1, v0
	s_branch .LBB6_703
.LBB6_708:
	global_load_dwordx2 v[0:1], v[9:10], off
	s_and_saveexec_b64 s[14:15], s[4:5]
	s_cbranch_execz .LBB6_711
; %bb.709:
	v_mov_b32_e32 v8, 0
	global_load_dwordx2 v[4:5], v8, s[6:7] offset:40
	global_load_dwordx2 v[9:10], v8, s[6:7] offset:24 glc
	global_load_dwordx2 v[6:7], v8, s[6:7]
	v_mov_b32_e32 v3, s13
	s_mov_b64 s[4:5], 0
	s_waitcnt vmcnt(2)
	v_add_co_u32_e32 v11, vcc, 1, v4
	v_addc_co_u32_e32 v12, vcc, 0, v5, vcc
	v_add_co_u32_e32 v2, vcc, s12, v11
	v_addc_co_u32_e32 v3, vcc, v12, v3, vcc
	v_cmp_eq_u64_e32 vcc, 0, v[2:3]
	v_cndmask_b32_e32 v3, v3, v12, vcc
	v_cndmask_b32_e32 v2, v2, v11, vcc
	v_and_b32_e32 v5, v3, v5
	v_and_b32_e32 v4, v2, v4
	v_mul_lo_u32 v5, v5, 24
	v_mul_hi_u32 v11, v4, 24
	v_mul_lo_u32 v12, v4, 24
	s_waitcnt vmcnt(1)
	v_mov_b32_e32 v4, v9
	v_add_u32_e32 v5, v11, v5
	s_waitcnt vmcnt(0)
	v_add_co_u32_e32 v6, vcc, v6, v12
	v_addc_co_u32_e32 v7, vcc, v7, v5, vcc
	global_store_dwordx2 v[6:7], v[9:10], off
	v_mov_b32_e32 v5, v10
	s_waitcnt vmcnt(0)
	global_atomic_cmpswap_x2 v[4:5], v8, v[2:5], s[6:7] offset:24 glc
	s_waitcnt vmcnt(0)
	v_cmp_ne_u64_e32 vcc, v[4:5], v[9:10]
	s_and_b64 exec, exec, vcc
	s_cbranch_execz .LBB6_711
.LBB6_710:                              ; =>This Inner Loop Header: Depth=1
	s_sleep 1
	global_store_dwordx2 v[6:7], v[4:5], off
	s_waitcnt vmcnt(0)
	global_atomic_cmpswap_x2 v[9:10], v8, v[2:5], s[6:7] offset:24 glc
	s_waitcnt vmcnt(0)
	v_cmp_eq_u64_e32 vcc, v[9:10], v[4:5]
	v_mov_b32_e32 v4, v9
	s_or_b64 s[4:5], vcc, s[4:5]
	v_mov_b32_e32 v5, v10
	s_andn2_b64 exec, exec, s[4:5]
	s_cbranch_execnz .LBB6_710
.LBB6_711:
	s_or_b64 exec, exec, s[14:15]
	s_and_b64 vcc, exec, s[10:11]
	s_cbranch_vccz .LBB6_796
; %bb.712:
	s_waitcnt vmcnt(0)
	v_and_b32_e32 v33, 2, v0
	v_mov_b32_e32 v28, 0
	v_and_b32_e32 v2, -3, v0
	v_mov_b32_e32 v3, v1
	s_mov_b64 s[14:15], 3
	v_mov_b32_e32 v6, 2
	v_mov_b32_e32 v7, 1
	s_getpc_b64 s[12:13]
	s_add_u32 s12, s12, .str.6@rel32@lo+4
	s_addc_u32 s13, s13, .str.6@rel32@hi+12
	s_branch .LBB6_714
.LBB6_713:                              ;   in Loop: Header=BB6_714 Depth=1
	s_or_b64 exec, exec, s[20:21]
	s_sub_u32 s14, s14, s16
	s_subb_u32 s15, s15, s17
	s_add_u32 s12, s12, s16
	s_addc_u32 s13, s13, s17
	s_cmp_lg_u64 s[14:15], 0
	s_cbranch_scc0 .LBB6_795
.LBB6_714:                              ; =>This Loop Header: Depth=1
                                        ;     Child Loop BB6_717 Depth 2
                                        ;     Child Loop BB6_724 Depth 2
	;; [unrolled: 1-line block ×11, first 2 shown]
	v_cmp_lt_u64_e64 s[4:5], s[14:15], 56
	v_cmp_gt_u64_e64 s[18:19], s[14:15], 7
	s_and_b64 s[4:5], s[4:5], exec
	s_cselect_b32 s17, s15, 0
	s_cselect_b32 s16, s14, 56
	s_and_b64 vcc, exec, s[18:19]
	s_cbranch_vccnz .LBB6_719
; %bb.715:                              ;   in Loop: Header=BB6_714 Depth=1
	v_mov_b32_e32 v10, 0
	s_cmp_eq_u64 s[14:15], 0
	v_mov_b32_e32 v11, 0
	s_mov_b64 s[4:5], 0
	s_cbranch_scc1 .LBB6_718
; %bb.716:                              ;   in Loop: Header=BB6_714 Depth=1
	v_mov_b32_e32 v10, 0
	s_lshl_b64 s[18:19], s[16:17], 3
	s_mov_b64 s[20:21], 0
	v_mov_b32_e32 v11, 0
	s_mov_b64 s[22:23], s[12:13]
.LBB6_717:                              ;   Parent Loop BB6_714 Depth=1
                                        ; =>  This Inner Loop Header: Depth=2
	global_load_ubyte v4, v28, s[22:23]
	s_waitcnt vmcnt(0)
	v_and_b32_e32 v27, 0xffff, v4
	v_lshlrev_b64 v[4:5], s20, v[27:28]
	s_add_u32 s20, s20, 8
	s_addc_u32 s21, s21, 0
	s_add_u32 s22, s22, 1
	s_addc_u32 s23, s23, 0
	v_or_b32_e32 v10, v4, v10
	s_cmp_lg_u32 s18, s20
	v_or_b32_e32 v11, v5, v11
	s_cbranch_scc1 .LBB6_717
.LBB6_718:                              ;   in Loop: Header=BB6_714 Depth=1
	s_mov_b32 s22, 0
	s_andn2_b64 vcc, exec, s[4:5]
	s_mov_b64 s[4:5], s[12:13]
	s_cbranch_vccz .LBB6_720
	s_branch .LBB6_721
.LBB6_719:                              ;   in Loop: Header=BB6_714 Depth=1
                                        ; implicit-def: $vgpr10_vgpr11
                                        ; implicit-def: $sgpr22
	s_mov_b64 s[4:5], s[12:13]
.LBB6_720:                              ;   in Loop: Header=BB6_714 Depth=1
	global_load_dwordx2 v[10:11], v28, s[12:13]
	s_add_i32 s22, s16, -8
	s_add_u32 s4, s12, 8
	s_addc_u32 s5, s13, 0
.LBB6_721:                              ;   in Loop: Header=BB6_714 Depth=1
	s_cmp_gt_u32 s22, 7
	s_cbranch_scc1 .LBB6_725
; %bb.722:                              ;   in Loop: Header=BB6_714 Depth=1
	s_cmp_eq_u32 s22, 0
	s_cbranch_scc1 .LBB6_726
; %bb.723:                              ;   in Loop: Header=BB6_714 Depth=1
	v_mov_b32_e32 v12, 0
	s_mov_b64 s[18:19], 0
	v_mov_b32_e32 v13, 0
	s_mov_b64 s[20:21], 0
.LBB6_724:                              ;   Parent Loop BB6_714 Depth=1
                                        ; =>  This Inner Loop Header: Depth=2
	s_add_u32 s24, s4, s20
	s_addc_u32 s25, s5, s21
	global_load_ubyte v4, v28, s[24:25]
	s_add_u32 s20, s20, 1
	s_addc_u32 s21, s21, 0
	s_waitcnt vmcnt(0)
	v_and_b32_e32 v27, 0xffff, v4
	v_lshlrev_b64 v[4:5], s18, v[27:28]
	s_add_u32 s18, s18, 8
	s_addc_u32 s19, s19, 0
	v_or_b32_e32 v12, v4, v12
	s_cmp_lg_u32 s22, s20
	v_or_b32_e32 v13, v5, v13
	s_cbranch_scc1 .LBB6_724
	s_branch .LBB6_727
.LBB6_725:                              ;   in Loop: Header=BB6_714 Depth=1
                                        ; implicit-def: $vgpr12_vgpr13
                                        ; implicit-def: $sgpr23
	s_branch .LBB6_728
.LBB6_726:                              ;   in Loop: Header=BB6_714 Depth=1
	v_mov_b32_e32 v12, 0
	v_mov_b32_e32 v13, 0
.LBB6_727:                              ;   in Loop: Header=BB6_714 Depth=1
	s_mov_b32 s23, 0
	s_cbranch_execnz .LBB6_729
.LBB6_728:                              ;   in Loop: Header=BB6_714 Depth=1
	global_load_dwordx2 v[12:13], v28, s[4:5]
	s_add_i32 s23, s22, -8
	s_add_u32 s4, s4, 8
	s_addc_u32 s5, s5, 0
.LBB6_729:                              ;   in Loop: Header=BB6_714 Depth=1
	s_cmp_gt_u32 s23, 7
	s_cbranch_scc1 .LBB6_733
; %bb.730:                              ;   in Loop: Header=BB6_714 Depth=1
	s_cmp_eq_u32 s23, 0
	s_cbranch_scc1 .LBB6_734
; %bb.731:                              ;   in Loop: Header=BB6_714 Depth=1
	v_mov_b32_e32 v14, 0
	s_mov_b64 s[18:19], 0
	v_mov_b32_e32 v15, 0
	s_mov_b64 s[20:21], 0
.LBB6_732:                              ;   Parent Loop BB6_714 Depth=1
                                        ; =>  This Inner Loop Header: Depth=2
	s_add_u32 s24, s4, s20
	s_addc_u32 s25, s5, s21
	global_load_ubyte v4, v28, s[24:25]
	s_add_u32 s20, s20, 1
	s_addc_u32 s21, s21, 0
	s_waitcnt vmcnt(0)
	v_and_b32_e32 v27, 0xffff, v4
	v_lshlrev_b64 v[4:5], s18, v[27:28]
	s_add_u32 s18, s18, 8
	s_addc_u32 s19, s19, 0
	v_or_b32_e32 v14, v4, v14
	s_cmp_lg_u32 s23, s20
	v_or_b32_e32 v15, v5, v15
	s_cbranch_scc1 .LBB6_732
	s_branch .LBB6_735
.LBB6_733:                              ;   in Loop: Header=BB6_714 Depth=1
                                        ; implicit-def: $sgpr22
	s_branch .LBB6_736
.LBB6_734:                              ;   in Loop: Header=BB6_714 Depth=1
	v_mov_b32_e32 v14, 0
	v_mov_b32_e32 v15, 0
.LBB6_735:                              ;   in Loop: Header=BB6_714 Depth=1
	s_mov_b32 s22, 0
	s_cbranch_execnz .LBB6_737
.LBB6_736:                              ;   in Loop: Header=BB6_714 Depth=1
	global_load_dwordx2 v[14:15], v28, s[4:5]
	s_add_i32 s22, s23, -8
	s_add_u32 s4, s4, 8
	s_addc_u32 s5, s5, 0
.LBB6_737:                              ;   in Loop: Header=BB6_714 Depth=1
	s_cmp_gt_u32 s22, 7
	s_cbranch_scc1 .LBB6_741
; %bb.738:                              ;   in Loop: Header=BB6_714 Depth=1
	s_cmp_eq_u32 s22, 0
	s_cbranch_scc1 .LBB6_742
; %bb.739:                              ;   in Loop: Header=BB6_714 Depth=1
	v_mov_b32_e32 v16, 0
	s_mov_b64 s[18:19], 0
	v_mov_b32_e32 v17, 0
	s_mov_b64 s[20:21], 0
.LBB6_740:                              ;   Parent Loop BB6_714 Depth=1
                                        ; =>  This Inner Loop Header: Depth=2
	s_add_u32 s24, s4, s20
	s_addc_u32 s25, s5, s21
	global_load_ubyte v4, v28, s[24:25]
	s_add_u32 s20, s20, 1
	s_addc_u32 s21, s21, 0
	s_waitcnt vmcnt(0)
	v_and_b32_e32 v27, 0xffff, v4
	v_lshlrev_b64 v[4:5], s18, v[27:28]
	s_add_u32 s18, s18, 8
	s_addc_u32 s19, s19, 0
	v_or_b32_e32 v16, v4, v16
	s_cmp_lg_u32 s22, s20
	v_or_b32_e32 v17, v5, v17
	s_cbranch_scc1 .LBB6_740
	s_branch .LBB6_743
.LBB6_741:                              ;   in Loop: Header=BB6_714 Depth=1
                                        ; implicit-def: $vgpr16_vgpr17
                                        ; implicit-def: $sgpr23
	s_branch .LBB6_744
.LBB6_742:                              ;   in Loop: Header=BB6_714 Depth=1
	v_mov_b32_e32 v16, 0
	v_mov_b32_e32 v17, 0
.LBB6_743:                              ;   in Loop: Header=BB6_714 Depth=1
	s_mov_b32 s23, 0
	s_cbranch_execnz .LBB6_745
.LBB6_744:                              ;   in Loop: Header=BB6_714 Depth=1
	global_load_dwordx2 v[16:17], v28, s[4:5]
	s_add_i32 s23, s22, -8
	s_add_u32 s4, s4, 8
	s_addc_u32 s5, s5, 0
.LBB6_745:                              ;   in Loop: Header=BB6_714 Depth=1
	s_cmp_gt_u32 s23, 7
	s_cbranch_scc1 .LBB6_749
; %bb.746:                              ;   in Loop: Header=BB6_714 Depth=1
	s_cmp_eq_u32 s23, 0
	s_cbranch_scc1 .LBB6_750
; %bb.747:                              ;   in Loop: Header=BB6_714 Depth=1
	v_mov_b32_e32 v18, 0
	s_mov_b64 s[18:19], 0
	v_mov_b32_e32 v19, 0
	s_mov_b64 s[20:21], 0
.LBB6_748:                              ;   Parent Loop BB6_714 Depth=1
                                        ; =>  This Inner Loop Header: Depth=2
	s_add_u32 s24, s4, s20
	s_addc_u32 s25, s5, s21
	global_load_ubyte v4, v28, s[24:25]
	s_add_u32 s20, s20, 1
	s_addc_u32 s21, s21, 0
	s_waitcnt vmcnt(0)
	v_and_b32_e32 v27, 0xffff, v4
	v_lshlrev_b64 v[4:5], s18, v[27:28]
	s_add_u32 s18, s18, 8
	s_addc_u32 s19, s19, 0
	v_or_b32_e32 v18, v4, v18
	s_cmp_lg_u32 s23, s20
	v_or_b32_e32 v19, v5, v19
	s_cbranch_scc1 .LBB6_748
	s_branch .LBB6_751
.LBB6_749:                              ;   in Loop: Header=BB6_714 Depth=1
                                        ; implicit-def: $sgpr22
	s_branch .LBB6_752
.LBB6_750:                              ;   in Loop: Header=BB6_714 Depth=1
	v_mov_b32_e32 v18, 0
	v_mov_b32_e32 v19, 0
.LBB6_751:                              ;   in Loop: Header=BB6_714 Depth=1
	s_mov_b32 s22, 0
	s_cbranch_execnz .LBB6_753
.LBB6_752:                              ;   in Loop: Header=BB6_714 Depth=1
	global_load_dwordx2 v[18:19], v28, s[4:5]
	s_add_i32 s22, s23, -8
	s_add_u32 s4, s4, 8
	s_addc_u32 s5, s5, 0
.LBB6_753:                              ;   in Loop: Header=BB6_714 Depth=1
	s_cmp_gt_u32 s22, 7
	s_cbranch_scc1 .LBB6_757
; %bb.754:                              ;   in Loop: Header=BB6_714 Depth=1
	s_cmp_eq_u32 s22, 0
	s_cbranch_scc1 .LBB6_758
; %bb.755:                              ;   in Loop: Header=BB6_714 Depth=1
	v_mov_b32_e32 v20, 0
	s_mov_b64 s[18:19], 0
	v_mov_b32_e32 v21, 0
	s_mov_b64 s[20:21], 0
.LBB6_756:                              ;   Parent Loop BB6_714 Depth=1
                                        ; =>  This Inner Loop Header: Depth=2
	s_add_u32 s24, s4, s20
	s_addc_u32 s25, s5, s21
	global_load_ubyte v4, v28, s[24:25]
	s_add_u32 s20, s20, 1
	s_addc_u32 s21, s21, 0
	s_waitcnt vmcnt(0)
	v_and_b32_e32 v27, 0xffff, v4
	v_lshlrev_b64 v[4:5], s18, v[27:28]
	s_add_u32 s18, s18, 8
	s_addc_u32 s19, s19, 0
	v_or_b32_e32 v20, v4, v20
	s_cmp_lg_u32 s22, s20
	v_or_b32_e32 v21, v5, v21
	s_cbranch_scc1 .LBB6_756
	s_branch .LBB6_759
.LBB6_757:                              ;   in Loop: Header=BB6_714 Depth=1
                                        ; implicit-def: $vgpr20_vgpr21
                                        ; implicit-def: $sgpr23
	s_branch .LBB6_760
.LBB6_758:                              ;   in Loop: Header=BB6_714 Depth=1
	v_mov_b32_e32 v20, 0
	v_mov_b32_e32 v21, 0
.LBB6_759:                              ;   in Loop: Header=BB6_714 Depth=1
	s_mov_b32 s23, 0
	s_cbranch_execnz .LBB6_761
.LBB6_760:                              ;   in Loop: Header=BB6_714 Depth=1
	global_load_dwordx2 v[20:21], v28, s[4:5]
	s_add_i32 s23, s22, -8
	s_add_u32 s4, s4, 8
	s_addc_u32 s5, s5, 0
.LBB6_761:                              ;   in Loop: Header=BB6_714 Depth=1
	s_cmp_gt_u32 s23, 7
	s_cbranch_scc1 .LBB6_765
; %bb.762:                              ;   in Loop: Header=BB6_714 Depth=1
	s_cmp_eq_u32 s23, 0
	s_cbranch_scc1 .LBB6_766
; %bb.763:                              ;   in Loop: Header=BB6_714 Depth=1
	v_mov_b32_e32 v22, 0
	s_mov_b64 s[18:19], 0
	v_mov_b32_e32 v23, 0
	s_mov_b64 s[20:21], s[4:5]
.LBB6_764:                              ;   Parent Loop BB6_714 Depth=1
                                        ; =>  This Inner Loop Header: Depth=2
	global_load_ubyte v4, v28, s[20:21]
	s_add_i32 s23, s23, -1
	s_waitcnt vmcnt(0)
	v_and_b32_e32 v27, 0xffff, v4
	v_lshlrev_b64 v[4:5], s18, v[27:28]
	s_add_u32 s18, s18, 8
	s_addc_u32 s19, s19, 0
	s_add_u32 s20, s20, 1
	s_addc_u32 s21, s21, 0
	v_or_b32_e32 v22, v4, v22
	s_cmp_lg_u32 s23, 0
	v_or_b32_e32 v23, v5, v23
	s_cbranch_scc1 .LBB6_764
	s_branch .LBB6_767
.LBB6_765:                              ;   in Loop: Header=BB6_714 Depth=1
	s_branch .LBB6_768
.LBB6_766:                              ;   in Loop: Header=BB6_714 Depth=1
	v_mov_b32_e32 v22, 0
	v_mov_b32_e32 v23, 0
.LBB6_767:                              ;   in Loop: Header=BB6_714 Depth=1
	s_cbranch_execnz .LBB6_769
.LBB6_768:                              ;   in Loop: Header=BB6_714 Depth=1
	global_load_dwordx2 v[22:23], v28, s[4:5]
.LBB6_769:                              ;   in Loop: Header=BB6_714 Depth=1
	v_readfirstlane_b32 s4, v32
	s_waitcnt vmcnt(0)
	v_mov_b32_e32 v4, 0
	v_mov_b32_e32 v5, 0
	v_cmp_eq_u32_e64 s[4:5], s4, v32
	s_and_saveexec_b64 s[18:19], s[4:5]
	s_cbranch_execz .LBB6_775
; %bb.770:                              ;   in Loop: Header=BB6_714 Depth=1
	global_load_dwordx2 v[26:27], v28, s[6:7] offset:24 glc
	s_waitcnt vmcnt(0)
	buffer_wbinvl1_vol
	global_load_dwordx2 v[4:5], v28, s[6:7] offset:40
	global_load_dwordx2 v[8:9], v28, s[6:7]
	s_waitcnt vmcnt(1)
	v_and_b32_e32 v4, v4, v26
	v_and_b32_e32 v5, v5, v27
	v_mul_lo_u32 v5, v5, 24
	v_mul_hi_u32 v24, v4, 24
	v_mul_lo_u32 v4, v4, 24
	v_add_u32_e32 v5, v24, v5
	s_waitcnt vmcnt(0)
	v_add_co_u32_e32 v4, vcc, v8, v4
	v_addc_co_u32_e32 v5, vcc, v9, v5, vcc
	global_load_dwordx2 v[24:25], v[4:5], off glc
	s_waitcnt vmcnt(0)
	global_atomic_cmpswap_x2 v[4:5], v28, v[24:27], s[6:7] offset:24 glc
	s_waitcnt vmcnt(0)
	buffer_wbinvl1_vol
	v_cmp_ne_u64_e32 vcc, v[4:5], v[26:27]
	s_and_saveexec_b64 s[20:21], vcc
	s_cbranch_execz .LBB6_774
; %bb.771:                              ;   in Loop: Header=BB6_714 Depth=1
	s_mov_b64 s[22:23], 0
.LBB6_772:                              ;   Parent Loop BB6_714 Depth=1
                                        ; =>  This Inner Loop Header: Depth=2
	s_sleep 1
	global_load_dwordx2 v[8:9], v28, s[6:7] offset:40
	global_load_dwordx2 v[24:25], v28, s[6:7]
	v_mov_b32_e32 v27, v5
	v_mov_b32_e32 v26, v4
	s_waitcnt vmcnt(1)
	v_and_b32_e32 v4, v8, v26
	s_waitcnt vmcnt(0)
	v_mad_u64_u32 v[4:5], s[24:25], v4, 24, v[24:25]
	v_and_b32_e32 v8, v9, v27
	v_mad_u64_u32 v[8:9], s[24:25], v8, 24, v[5:6]
	v_mov_b32_e32 v5, v8
	global_load_dwordx2 v[24:25], v[4:5], off glc
	s_waitcnt vmcnt(0)
	global_atomic_cmpswap_x2 v[4:5], v28, v[24:27], s[6:7] offset:24 glc
	s_waitcnt vmcnt(0)
	buffer_wbinvl1_vol
	v_cmp_eq_u64_e32 vcc, v[4:5], v[26:27]
	s_or_b64 s[22:23], vcc, s[22:23]
	s_andn2_b64 exec, exec, s[22:23]
	s_cbranch_execnz .LBB6_772
; %bb.773:                              ;   in Loop: Header=BB6_714 Depth=1
	s_or_b64 exec, exec, s[22:23]
.LBB6_774:                              ;   in Loop: Header=BB6_714 Depth=1
	s_or_b64 exec, exec, s[20:21]
.LBB6_775:                              ;   in Loop: Header=BB6_714 Depth=1
	s_or_b64 exec, exec, s[18:19]
	global_load_dwordx2 v[8:9], v28, s[6:7] offset:40
	global_load_dwordx4 v[24:27], v28, s[6:7]
	v_readfirstlane_b32 s18, v4
	v_readfirstlane_b32 s19, v5
	s_mov_b64 s[22:23], exec
	s_waitcnt vmcnt(1)
	v_readfirstlane_b32 s20, v8
	v_readfirstlane_b32 s21, v9
	s_and_b64 s[20:21], s[18:19], s[20:21]
	s_mul_i32 s24, s21, 24
	s_mul_hi_u32 s25, s20, 24
	s_mul_i32 s26, s20, 24
	s_add_i32 s24, s25, s24
	v_mov_b32_e32 v4, s24
	s_waitcnt vmcnt(0)
	v_add_co_u32_e32 v29, vcc, s26, v24
	v_addc_co_u32_e32 v30, vcc, v25, v4, vcc
	s_and_saveexec_b64 s[24:25], s[4:5]
	s_cbranch_execz .LBB6_777
; %bb.776:                              ;   in Loop: Header=BB6_714 Depth=1
	v_mov_b32_e32 v4, s22
	v_mov_b32_e32 v5, s23
	global_store_dwordx4 v[29:30], v[4:7], off offset:8
.LBB6_777:                              ;   in Loop: Header=BB6_714 Depth=1
	s_or_b64 exec, exec, s[24:25]
	v_cmp_gt_u64_e64 vcc, s[14:15], 56
	v_or_b32_e32 v4, 0, v3
	v_cndmask_b32_e32 v9, v4, v3, vcc
	v_or_b32_e32 v3, v2, v33
	s_lshl_b32 s22, s16, 2
	v_cndmask_b32_e32 v2, v3, v2, vcc
	s_add_i32 s22, s22, 28
	s_and_b32 s22, s22, 0x1e0
	v_and_b32_e32 v2, 0xffffff1f, v2
	s_lshl_b64 s[20:21], s[20:21], 12
	v_or_b32_e32 v8, s22, v2
	v_mov_b32_e32 v2, s21
	v_add_co_u32_e32 v26, vcc, s20, v26
	v_addc_co_u32_e32 v34, vcc, v27, v2, vcc
	v_readfirstlane_b32 s20, v26
	v_readfirstlane_b32 s21, v34
	s_nop 4
	global_store_dwordx4 v31, v[8:11], s[20:21]
	global_store_dwordx4 v31, v[12:15], s[20:21] offset:16
	global_store_dwordx4 v31, v[16:19], s[20:21] offset:32
	;; [unrolled: 1-line block ×3, first 2 shown]
	s_and_saveexec_b64 s[20:21], s[4:5]
	s_cbranch_execz .LBB6_785
; %bb.778:                              ;   in Loop: Header=BB6_714 Depth=1
	global_load_dwordx2 v[12:13], v28, s[6:7] offset:32 glc
	global_load_dwordx2 v[2:3], v28, s[6:7] offset:40
	v_mov_b32_e32 v10, s18
	v_mov_b32_e32 v11, s19
	s_waitcnt vmcnt(0)
	v_readfirstlane_b32 s22, v2
	v_readfirstlane_b32 s23, v3
	s_and_b64 s[22:23], s[22:23], s[18:19]
	s_mul_i32 s23, s23, 24
	s_mul_hi_u32 s24, s22, 24
	s_mul_i32 s22, s22, 24
	s_add_i32 s23, s24, s23
	v_mov_b32_e32 v2, s23
	v_add_co_u32_e32 v8, vcc, s22, v24
	v_addc_co_u32_e32 v9, vcc, v25, v2, vcc
	global_store_dwordx2 v[8:9], v[12:13], off
	s_waitcnt vmcnt(0)
	global_atomic_cmpswap_x2 v[4:5], v28, v[10:13], s[6:7] offset:32 glc
	s_waitcnt vmcnt(0)
	v_cmp_ne_u64_e32 vcc, v[4:5], v[12:13]
	s_and_saveexec_b64 s[22:23], vcc
	s_cbranch_execz .LBB6_781
; %bb.779:                              ;   in Loop: Header=BB6_714 Depth=1
	s_mov_b64 s[24:25], 0
.LBB6_780:                              ;   Parent Loop BB6_714 Depth=1
                                        ; =>  This Inner Loop Header: Depth=2
	s_sleep 1
	global_store_dwordx2 v[8:9], v[4:5], off
	v_mov_b32_e32 v2, s18
	v_mov_b32_e32 v3, s19
	s_waitcnt vmcnt(0)
	global_atomic_cmpswap_x2 v[2:3], v28, v[2:5], s[6:7] offset:32 glc
	s_waitcnt vmcnt(0)
	v_cmp_eq_u64_e32 vcc, v[2:3], v[4:5]
	v_mov_b32_e32 v5, v3
	s_or_b64 s[24:25], vcc, s[24:25]
	v_mov_b32_e32 v4, v2
	s_andn2_b64 exec, exec, s[24:25]
	s_cbranch_execnz .LBB6_780
.LBB6_781:                              ;   in Loop: Header=BB6_714 Depth=1
	s_or_b64 exec, exec, s[22:23]
	global_load_dwordx2 v[2:3], v28, s[6:7] offset:16
	s_mov_b64 s[24:25], exec
	v_mbcnt_lo_u32_b32 v4, s24, 0
	v_mbcnt_hi_u32_b32 v4, s25, v4
	v_cmp_eq_u32_e32 vcc, 0, v4
	s_and_saveexec_b64 s[22:23], vcc
	s_cbranch_execz .LBB6_783
; %bb.782:                              ;   in Loop: Header=BB6_714 Depth=1
	s_bcnt1_i32_b64 s24, s[24:25]
	v_mov_b32_e32 v27, s24
	s_waitcnt vmcnt(0)
	global_atomic_add_x2 v[2:3], v[27:28], off offset:8
.LBB6_783:                              ;   in Loop: Header=BB6_714 Depth=1
	s_or_b64 exec, exec, s[22:23]
	s_waitcnt vmcnt(0)
	global_load_dwordx2 v[4:5], v[2:3], off offset:16
	s_waitcnt vmcnt(0)
	v_cmp_eq_u64_e32 vcc, 0, v[4:5]
	s_cbranch_vccnz .LBB6_785
; %bb.784:                              ;   in Loop: Header=BB6_714 Depth=1
	global_load_dword v27, v[2:3], off offset:24
	s_waitcnt vmcnt(0)
	v_and_b32_e32 v2, 0xffffff, v27
	v_readfirstlane_b32 m0, v2
	global_store_dwordx2 v[4:5], v[27:28], off
	s_sendmsg sendmsg(MSG_INTERRUPT)
.LBB6_785:                              ;   in Loop: Header=BB6_714 Depth=1
	s_or_b64 exec, exec, s[20:21]
	v_add_co_u32_e32 v2, vcc, v26, v31
	v_addc_co_u32_e32 v3, vcc, 0, v34, vcc
	s_branch .LBB6_789
.LBB6_786:                              ;   in Loop: Header=BB6_789 Depth=2
	s_or_b64 exec, exec, s[20:21]
	v_readfirstlane_b32 s20, v4
	s_cmp_eq_u32 s20, 0
	s_cbranch_scc1 .LBB6_788
; %bb.787:                              ;   in Loop: Header=BB6_789 Depth=2
	s_sleep 1
	s_cbranch_execnz .LBB6_789
	s_branch .LBB6_791
.LBB6_788:                              ;   in Loop: Header=BB6_714 Depth=1
	s_branch .LBB6_791
.LBB6_789:                              ;   Parent Loop BB6_714 Depth=1
                                        ; =>  This Inner Loop Header: Depth=2
	v_mov_b32_e32 v4, 1
	s_and_saveexec_b64 s[20:21], s[4:5]
	s_cbranch_execz .LBB6_786
; %bb.790:                              ;   in Loop: Header=BB6_789 Depth=2
	global_load_dword v4, v[29:30], off offset:20 glc
	s_waitcnt vmcnt(0)
	buffer_wbinvl1_vol
	v_and_b32_e32 v4, 1, v4
	s_branch .LBB6_786
.LBB6_791:                              ;   in Loop: Header=BB6_714 Depth=1
	global_load_dwordx4 v[2:5], v[2:3], off
	s_and_saveexec_b64 s[20:21], s[4:5]
	s_cbranch_execz .LBB6_713
; %bb.792:                              ;   in Loop: Header=BB6_714 Depth=1
	global_load_dwordx2 v[4:5], v28, s[6:7] offset:40
	global_load_dwordx2 v[12:13], v28, s[6:7] offset:24 glc
	global_load_dwordx2 v[14:15], v28, s[6:7]
	v_mov_b32_e32 v9, s19
	s_waitcnt vmcnt(2)
	v_add_co_u32_e32 v10, vcc, 1, v4
	v_addc_co_u32_e32 v11, vcc, 0, v5, vcc
	v_add_co_u32_e32 v8, vcc, s18, v10
	v_addc_co_u32_e32 v9, vcc, v11, v9, vcc
	v_cmp_eq_u64_e32 vcc, 0, v[8:9]
	v_cndmask_b32_e32 v9, v9, v11, vcc
	v_cndmask_b32_e32 v8, v8, v10, vcc
	v_and_b32_e32 v5, v9, v5
	v_and_b32_e32 v4, v8, v4
	v_mul_lo_u32 v5, v5, 24
	v_mul_hi_u32 v11, v4, 24
	v_mul_lo_u32 v4, v4, 24
	s_waitcnt vmcnt(1)
	v_mov_b32_e32 v10, v12
	v_add_u32_e32 v5, v11, v5
	s_waitcnt vmcnt(0)
	v_add_co_u32_e32 v4, vcc, v14, v4
	v_addc_co_u32_e32 v5, vcc, v15, v5, vcc
	global_store_dwordx2 v[4:5], v[12:13], off
	v_mov_b32_e32 v11, v13
	s_waitcnt vmcnt(0)
	global_atomic_cmpswap_x2 v[10:11], v28, v[8:11], s[6:7] offset:24 glc
	s_waitcnt vmcnt(0)
	v_cmp_ne_u64_e32 vcc, v[10:11], v[12:13]
	s_and_b64 exec, exec, vcc
	s_cbranch_execz .LBB6_713
; %bb.793:                              ;   in Loop: Header=BB6_714 Depth=1
	s_mov_b64 s[4:5], 0
.LBB6_794:                              ;   Parent Loop BB6_714 Depth=1
                                        ; =>  This Inner Loop Header: Depth=2
	s_sleep 1
	global_store_dwordx2 v[4:5], v[10:11], off
	s_waitcnt vmcnt(0)
	global_atomic_cmpswap_x2 v[12:13], v28, v[8:11], s[6:7] offset:24 glc
	s_waitcnt vmcnt(0)
	v_cmp_eq_u64_e32 vcc, v[12:13], v[10:11]
	v_mov_b32_e32 v10, v12
	s_or_b64 s[4:5], vcc, s[4:5]
	v_mov_b32_e32 v11, v13
	s_andn2_b64 exec, exec, s[4:5]
	s_cbranch_execnz .LBB6_794
	s_branch .LBB6_713
.LBB6_795:
	s_branch .LBB6_823
.LBB6_796:
                                        ; implicit-def: $vgpr2_vgpr3
	s_cbranch_execz .LBB6_823
; %bb.797:
	v_readfirstlane_b32 s4, v32
	v_mov_b32_e32 v8, 0
	v_mov_b32_e32 v9, 0
	v_cmp_eq_u32_e64 s[4:5], s4, v32
	s_and_saveexec_b64 s[12:13], s[4:5]
	s_cbranch_execz .LBB6_803
; %bb.798:
	s_waitcnt vmcnt(0)
	v_mov_b32_e32 v2, 0
	global_load_dwordx2 v[5:6], v2, s[6:7] offset:24 glc
	s_waitcnt vmcnt(0)
	buffer_wbinvl1_vol
	global_load_dwordx2 v[3:4], v2, s[6:7] offset:40
	global_load_dwordx2 v[7:8], v2, s[6:7]
	s_waitcnt vmcnt(1)
	v_and_b32_e32 v3, v3, v5
	v_and_b32_e32 v4, v4, v6
	v_mul_lo_u32 v4, v4, 24
	v_mul_hi_u32 v9, v3, 24
	v_mul_lo_u32 v3, v3, 24
	v_add_u32_e32 v4, v9, v4
	s_waitcnt vmcnt(0)
	v_add_co_u32_e32 v3, vcc, v7, v3
	v_addc_co_u32_e32 v4, vcc, v8, v4, vcc
	global_load_dwordx2 v[3:4], v[3:4], off glc
	s_waitcnt vmcnt(0)
	global_atomic_cmpswap_x2 v[8:9], v2, v[3:6], s[6:7] offset:24 glc
	s_waitcnt vmcnt(0)
	buffer_wbinvl1_vol
	v_cmp_ne_u64_e32 vcc, v[8:9], v[5:6]
	s_and_saveexec_b64 s[14:15], vcc
	s_cbranch_execz .LBB6_802
; %bb.799:
	s_mov_b64 s[16:17], 0
.LBB6_800:                              ; =>This Inner Loop Header: Depth=1
	s_sleep 1
	global_load_dwordx2 v[3:4], v2, s[6:7] offset:40
	global_load_dwordx2 v[10:11], v2, s[6:7]
	v_mov_b32_e32 v5, v8
	v_mov_b32_e32 v6, v9
	s_waitcnt vmcnt(1)
	v_and_b32_e32 v3, v3, v5
	s_waitcnt vmcnt(0)
	v_mad_u64_u32 v[7:8], s[18:19], v3, 24, v[10:11]
	v_and_b32_e32 v4, v4, v6
	v_mov_b32_e32 v3, v8
	v_mad_u64_u32 v[3:4], s[18:19], v4, 24, v[3:4]
	v_mov_b32_e32 v8, v3
	global_load_dwordx2 v[3:4], v[7:8], off glc
	s_waitcnt vmcnt(0)
	global_atomic_cmpswap_x2 v[8:9], v2, v[3:6], s[6:7] offset:24 glc
	s_waitcnt vmcnt(0)
	buffer_wbinvl1_vol
	v_cmp_eq_u64_e32 vcc, v[8:9], v[5:6]
	s_or_b64 s[16:17], vcc, s[16:17]
	s_andn2_b64 exec, exec, s[16:17]
	s_cbranch_execnz .LBB6_800
; %bb.801:
	s_or_b64 exec, exec, s[16:17]
.LBB6_802:
	s_or_b64 exec, exec, s[14:15]
.LBB6_803:
	s_or_b64 exec, exec, s[12:13]
	s_waitcnt vmcnt(0)
	v_mov_b32_e32 v2, 0
	global_load_dwordx2 v[10:11], v2, s[6:7] offset:40
	global_load_dwordx4 v[4:7], v2, s[6:7]
	v_readfirstlane_b32 s12, v8
	v_readfirstlane_b32 s13, v9
	s_mov_b64 s[14:15], exec
	s_waitcnt vmcnt(1)
	v_readfirstlane_b32 s16, v10
	v_readfirstlane_b32 s17, v11
	s_and_b64 s[16:17], s[12:13], s[16:17]
	s_mul_i32 s18, s17, 24
	s_mul_hi_u32 s19, s16, 24
	s_mul_i32 s20, s16, 24
	s_add_i32 s18, s19, s18
	v_mov_b32_e32 v3, s18
	s_waitcnt vmcnt(0)
	v_add_co_u32_e32 v8, vcc, s20, v4
	v_addc_co_u32_e32 v9, vcc, v5, v3, vcc
	s_and_saveexec_b64 s[18:19], s[4:5]
	s_cbranch_execz .LBB6_805
; %bb.804:
	v_mov_b32_e32 v10, s14
	v_mov_b32_e32 v11, s15
	;; [unrolled: 1-line block ×4, first 2 shown]
	global_store_dwordx4 v[8:9], v[10:13], off offset:8
.LBB6_805:
	s_or_b64 exec, exec, s[18:19]
	s_lshl_b64 s[14:15], s[16:17], 12
	v_mov_b32_e32 v3, s15
	v_add_co_u32_e32 v10, vcc, s14, v6
	v_addc_co_u32_e32 v11, vcc, v7, v3, vcc
	s_movk_i32 s14, 0xff1f
	v_and_or_b32 v0, v0, s14, 32
	s_mov_b32 s16, 0
	v_mov_b32_e32 v3, v2
	v_readfirstlane_b32 s14, v10
	v_readfirstlane_b32 s15, v11
	v_add_co_u32_e32 v6, vcc, v10, v31
	s_mov_b32 s17, s16
	s_mov_b32 s18, s16
	;; [unrolled: 1-line block ×3, first 2 shown]
	s_nop 0
	global_store_dwordx4 v31, v[0:3], s[14:15]
	v_addc_co_u32_e32 v7, vcc, 0, v11, vcc
	v_mov_b32_e32 v0, s16
	v_mov_b32_e32 v1, s17
	;; [unrolled: 1-line block ×4, first 2 shown]
	global_store_dwordx4 v31, v[0:3], s[14:15] offset:16
	global_store_dwordx4 v31, v[0:3], s[14:15] offset:32
	;; [unrolled: 1-line block ×3, first 2 shown]
	s_and_saveexec_b64 s[14:15], s[4:5]
	s_cbranch_execz .LBB6_813
; %bb.806:
	v_mov_b32_e32 v10, 0
	global_load_dwordx2 v[13:14], v10, s[6:7] offset:32 glc
	global_load_dwordx2 v[0:1], v10, s[6:7] offset:40
	v_mov_b32_e32 v11, s12
	v_mov_b32_e32 v12, s13
	s_waitcnt vmcnt(0)
	v_readfirstlane_b32 s16, v0
	v_readfirstlane_b32 s17, v1
	s_and_b64 s[16:17], s[16:17], s[12:13]
	s_mul_i32 s17, s17, 24
	s_mul_hi_u32 s18, s16, 24
	s_mul_i32 s16, s16, 24
	s_add_i32 s17, s18, s17
	v_mov_b32_e32 v0, s17
	v_add_co_u32_e32 v4, vcc, s16, v4
	v_addc_co_u32_e32 v5, vcc, v5, v0, vcc
	global_store_dwordx2 v[4:5], v[13:14], off
	s_waitcnt vmcnt(0)
	global_atomic_cmpswap_x2 v[2:3], v10, v[11:14], s[6:7] offset:32 glc
	s_waitcnt vmcnt(0)
	v_cmp_ne_u64_e32 vcc, v[2:3], v[13:14]
	s_and_saveexec_b64 s[16:17], vcc
	s_cbranch_execz .LBB6_809
; %bb.807:
	s_mov_b64 s[18:19], 0
.LBB6_808:                              ; =>This Inner Loop Header: Depth=1
	s_sleep 1
	global_store_dwordx2 v[4:5], v[2:3], off
	v_mov_b32_e32 v0, s12
	v_mov_b32_e32 v1, s13
	s_waitcnt vmcnt(0)
	global_atomic_cmpswap_x2 v[0:1], v10, v[0:3], s[6:7] offset:32 glc
	s_waitcnt vmcnt(0)
	v_cmp_eq_u64_e32 vcc, v[0:1], v[2:3]
	v_mov_b32_e32 v3, v1
	s_or_b64 s[18:19], vcc, s[18:19]
	v_mov_b32_e32 v2, v0
	s_andn2_b64 exec, exec, s[18:19]
	s_cbranch_execnz .LBB6_808
.LBB6_809:
	s_or_b64 exec, exec, s[16:17]
	v_mov_b32_e32 v3, 0
	global_load_dwordx2 v[0:1], v3, s[6:7] offset:16
	s_mov_b64 s[16:17], exec
	v_mbcnt_lo_u32_b32 v2, s16, 0
	v_mbcnt_hi_u32_b32 v2, s17, v2
	v_cmp_eq_u32_e32 vcc, 0, v2
	s_and_saveexec_b64 s[18:19], vcc
	s_cbranch_execz .LBB6_811
; %bb.810:
	s_bcnt1_i32_b64 s16, s[16:17]
	v_mov_b32_e32 v2, s16
	s_waitcnt vmcnt(0)
	global_atomic_add_x2 v[0:1], v[2:3], off offset:8
.LBB6_811:
	s_or_b64 exec, exec, s[18:19]
	s_waitcnt vmcnt(0)
	global_load_dwordx2 v[2:3], v[0:1], off offset:16
	s_waitcnt vmcnt(0)
	v_cmp_eq_u64_e32 vcc, 0, v[2:3]
	s_cbranch_vccnz .LBB6_813
; %bb.812:
	global_load_dword v0, v[0:1], off offset:24
	v_mov_b32_e32 v1, 0
	s_waitcnt vmcnt(0)
	global_store_dwordx2 v[2:3], v[0:1], off
	v_and_b32_e32 v0, 0xffffff, v0
	v_readfirstlane_b32 m0, v0
	s_sendmsg sendmsg(MSG_INTERRUPT)
.LBB6_813:
	s_or_b64 exec, exec, s[14:15]
	s_branch .LBB6_817
.LBB6_814:                              ;   in Loop: Header=BB6_817 Depth=1
	s_or_b64 exec, exec, s[14:15]
	v_readfirstlane_b32 s14, v0
	s_cmp_eq_u32 s14, 0
	s_cbranch_scc1 .LBB6_816
; %bb.815:                              ;   in Loop: Header=BB6_817 Depth=1
	s_sleep 1
	s_cbranch_execnz .LBB6_817
	s_branch .LBB6_819
.LBB6_816:
	s_branch .LBB6_819
.LBB6_817:                              ; =>This Inner Loop Header: Depth=1
	v_mov_b32_e32 v0, 1
	s_and_saveexec_b64 s[14:15], s[4:5]
	s_cbranch_execz .LBB6_814
; %bb.818:                              ;   in Loop: Header=BB6_817 Depth=1
	global_load_dword v0, v[8:9], off offset:20 glc
	s_waitcnt vmcnt(0)
	buffer_wbinvl1_vol
	v_and_b32_e32 v0, 1, v0
	s_branch .LBB6_814
.LBB6_819:
	global_load_dwordx2 v[2:3], v[6:7], off
	s_and_saveexec_b64 s[14:15], s[4:5]
	s_cbranch_execz .LBB6_822
; %bb.820:
	v_mov_b32_e32 v8, 0
	global_load_dwordx2 v[0:1], v8, s[6:7] offset:40
	global_load_dwordx2 v[9:10], v8, s[6:7] offset:24 glc
	global_load_dwordx2 v[11:12], v8, s[6:7]
	v_mov_b32_e32 v5, s13
	s_mov_b64 s[4:5], 0
	s_waitcnt vmcnt(2)
	v_add_co_u32_e32 v6, vcc, 1, v0
	v_addc_co_u32_e32 v7, vcc, 0, v1, vcc
	v_add_co_u32_e32 v4, vcc, s12, v6
	v_addc_co_u32_e32 v5, vcc, v7, v5, vcc
	v_cmp_eq_u64_e32 vcc, 0, v[4:5]
	v_cndmask_b32_e32 v5, v5, v7, vcc
	v_cndmask_b32_e32 v4, v4, v6, vcc
	v_and_b32_e32 v1, v5, v1
	v_and_b32_e32 v0, v4, v0
	v_mul_lo_u32 v1, v1, 24
	v_mul_hi_u32 v7, v0, 24
	v_mul_lo_u32 v0, v0, 24
	s_waitcnt vmcnt(1)
	v_mov_b32_e32 v6, v9
	v_add_u32_e32 v1, v7, v1
	s_waitcnt vmcnt(0)
	v_add_co_u32_e32 v0, vcc, v11, v0
	v_addc_co_u32_e32 v1, vcc, v12, v1, vcc
	global_store_dwordx2 v[0:1], v[9:10], off
	v_mov_b32_e32 v7, v10
	s_waitcnt vmcnt(0)
	global_atomic_cmpswap_x2 v[6:7], v8, v[4:7], s[6:7] offset:24 glc
	s_waitcnt vmcnt(0)
	v_cmp_ne_u64_e32 vcc, v[6:7], v[9:10]
	s_and_b64 exec, exec, vcc
	s_cbranch_execz .LBB6_822
.LBB6_821:                              ; =>This Inner Loop Header: Depth=1
	s_sleep 1
	global_store_dwordx2 v[0:1], v[6:7], off
	s_waitcnt vmcnt(0)
	global_atomic_cmpswap_x2 v[9:10], v8, v[4:7], s[6:7] offset:24 glc
	s_waitcnt vmcnt(0)
	v_cmp_eq_u64_e32 vcc, v[9:10], v[6:7]
	v_mov_b32_e32 v6, v9
	s_or_b64 s[4:5], vcc, s[4:5]
	v_mov_b32_e32 v7, v10
	s_andn2_b64 exec, exec, s[4:5]
	s_cbranch_execnz .LBB6_821
.LBB6_822:
	s_or_b64 exec, exec, s[14:15]
.LBB6_823:
	v_readfirstlane_b32 s4, v32
	s_waitcnt vmcnt(0)
	v_mov_b32_e32 v0, 0
	v_mov_b32_e32 v1, 0
	v_cmp_eq_u32_e64 s[4:5], s4, v32
	s_and_saveexec_b64 s[12:13], s[4:5]
	s_cbranch_execz .LBB6_829
; %bb.824:
	v_mov_b32_e32 v4, 0
	global_load_dwordx2 v[7:8], v4, s[6:7] offset:24 glc
	s_waitcnt vmcnt(0)
	buffer_wbinvl1_vol
	global_load_dwordx2 v[0:1], v4, s[6:7] offset:40
	global_load_dwordx2 v[5:6], v4, s[6:7]
	s_waitcnt vmcnt(1)
	v_and_b32_e32 v0, v0, v7
	v_and_b32_e32 v1, v1, v8
	v_mul_lo_u32 v1, v1, 24
	v_mul_hi_u32 v9, v0, 24
	v_mul_lo_u32 v0, v0, 24
	v_add_u32_e32 v1, v9, v1
	s_waitcnt vmcnt(0)
	v_add_co_u32_e32 v0, vcc, v5, v0
	v_addc_co_u32_e32 v1, vcc, v6, v1, vcc
	global_load_dwordx2 v[5:6], v[0:1], off glc
	s_waitcnt vmcnt(0)
	global_atomic_cmpswap_x2 v[0:1], v4, v[5:8], s[6:7] offset:24 glc
	s_waitcnt vmcnt(0)
	buffer_wbinvl1_vol
	v_cmp_ne_u64_e32 vcc, v[0:1], v[7:8]
	s_and_saveexec_b64 s[14:15], vcc
	s_cbranch_execz .LBB6_828
; %bb.825:
	s_mov_b64 s[16:17], 0
.LBB6_826:                              ; =>This Inner Loop Header: Depth=1
	s_sleep 1
	global_load_dwordx2 v[5:6], v4, s[6:7] offset:40
	global_load_dwordx2 v[9:10], v4, s[6:7]
	v_mov_b32_e32 v8, v1
	v_mov_b32_e32 v7, v0
	s_waitcnt vmcnt(1)
	v_and_b32_e32 v0, v5, v7
	s_waitcnt vmcnt(0)
	v_mad_u64_u32 v[0:1], s[18:19], v0, 24, v[9:10]
	v_and_b32_e32 v5, v6, v8
	v_mad_u64_u32 v[5:6], s[18:19], v5, 24, v[1:2]
	v_mov_b32_e32 v1, v5
	global_load_dwordx2 v[5:6], v[0:1], off glc
	s_waitcnt vmcnt(0)
	global_atomic_cmpswap_x2 v[0:1], v4, v[5:8], s[6:7] offset:24 glc
	s_waitcnt vmcnt(0)
	buffer_wbinvl1_vol
	v_cmp_eq_u64_e32 vcc, v[0:1], v[7:8]
	s_or_b64 s[16:17], vcc, s[16:17]
	s_andn2_b64 exec, exec, s[16:17]
	s_cbranch_execnz .LBB6_826
; %bb.827:
	s_or_b64 exec, exec, s[16:17]
.LBB6_828:
	s_or_b64 exec, exec, s[14:15]
.LBB6_829:
	s_or_b64 exec, exec, s[12:13]
	v_mov_b32_e32 v5, 0
	global_load_dwordx2 v[10:11], v5, s[6:7] offset:40
	global_load_dwordx4 v[6:9], v5, s[6:7]
	v_readfirstlane_b32 s12, v0
	v_readfirstlane_b32 s13, v1
	s_mov_b64 s[14:15], exec
	s_waitcnt vmcnt(1)
	v_readfirstlane_b32 s16, v10
	v_readfirstlane_b32 s17, v11
	s_and_b64 s[16:17], s[12:13], s[16:17]
	s_mul_i32 s18, s17, 24
	s_mul_hi_u32 s19, s16, 24
	s_mul_i32 s20, s16, 24
	s_add_i32 s18, s19, s18
	v_mov_b32_e32 v0, s18
	s_waitcnt vmcnt(0)
	v_add_co_u32_e32 v10, vcc, s20, v6
	v_addc_co_u32_e32 v11, vcc, v7, v0, vcc
	s_and_saveexec_b64 s[18:19], s[4:5]
	s_cbranch_execz .LBB6_831
; %bb.830:
	v_mov_b32_e32 v12, s14
	v_mov_b32_e32 v13, s15
	;; [unrolled: 1-line block ×4, first 2 shown]
	global_store_dwordx4 v[10:11], v[12:15], off offset:8
.LBB6_831:
	s_or_b64 exec, exec, s[18:19]
	s_lshl_b64 s[14:15], s[16:17], 12
	v_mov_b32_e32 v0, s15
	v_add_co_u32_e32 v1, vcc, s14, v8
	v_addc_co_u32_e32 v0, vcc, v9, v0, vcc
	s_movk_i32 s14, 0xff1d
	v_and_or_b32 v2, v2, s14, 34
	s_mov_b32 s16, 0
	v_mov_b32_e32 v4, 58
	v_readfirstlane_b32 s14, v1
	v_readfirstlane_b32 s15, v0
	s_mov_b32 s17, s16
	s_mov_b32 s18, s16
	;; [unrolled: 1-line block ×3, first 2 shown]
	s_nop 1
	global_store_dwordx4 v31, v[2:5], s[14:15]
	v_mov_b32_e32 v0, s16
	v_mov_b32_e32 v1, s17
	;; [unrolled: 1-line block ×4, first 2 shown]
	global_store_dwordx4 v31, v[0:3], s[14:15] offset:16
	global_store_dwordx4 v31, v[0:3], s[14:15] offset:32
	;; [unrolled: 1-line block ×3, first 2 shown]
	s_and_saveexec_b64 s[14:15], s[4:5]
	s_cbranch_execz .LBB6_839
; %bb.832:
	v_mov_b32_e32 v8, 0
	global_load_dwordx2 v[14:15], v8, s[6:7] offset:32 glc
	global_load_dwordx2 v[0:1], v8, s[6:7] offset:40
	v_mov_b32_e32 v12, s12
	v_mov_b32_e32 v13, s13
	s_waitcnt vmcnt(0)
	v_readfirstlane_b32 s16, v0
	v_readfirstlane_b32 s17, v1
	s_and_b64 s[16:17], s[16:17], s[12:13]
	s_mul_i32 s17, s17, 24
	s_mul_hi_u32 s18, s16, 24
	s_mul_i32 s16, s16, 24
	s_add_i32 s17, s18, s17
	v_mov_b32_e32 v0, s17
	v_add_co_u32_e32 v4, vcc, s16, v6
	v_addc_co_u32_e32 v5, vcc, v7, v0, vcc
	global_store_dwordx2 v[4:5], v[14:15], off
	s_waitcnt vmcnt(0)
	global_atomic_cmpswap_x2 v[2:3], v8, v[12:15], s[6:7] offset:32 glc
	s_waitcnt vmcnt(0)
	v_cmp_ne_u64_e32 vcc, v[2:3], v[14:15]
	s_and_saveexec_b64 s[16:17], vcc
	s_cbranch_execz .LBB6_835
; %bb.833:
	s_mov_b64 s[18:19], 0
.LBB6_834:                              ; =>This Inner Loop Header: Depth=1
	s_sleep 1
	global_store_dwordx2 v[4:5], v[2:3], off
	v_mov_b32_e32 v0, s12
	v_mov_b32_e32 v1, s13
	s_waitcnt vmcnt(0)
	global_atomic_cmpswap_x2 v[0:1], v8, v[0:3], s[6:7] offset:32 glc
	s_waitcnt vmcnt(0)
	v_cmp_eq_u64_e32 vcc, v[0:1], v[2:3]
	v_mov_b32_e32 v3, v1
	s_or_b64 s[18:19], vcc, s[18:19]
	v_mov_b32_e32 v2, v0
	s_andn2_b64 exec, exec, s[18:19]
	s_cbranch_execnz .LBB6_834
.LBB6_835:
	s_or_b64 exec, exec, s[16:17]
	v_mov_b32_e32 v3, 0
	global_load_dwordx2 v[0:1], v3, s[6:7] offset:16
	s_mov_b64 s[16:17], exec
	v_mbcnt_lo_u32_b32 v2, s16, 0
	v_mbcnt_hi_u32_b32 v2, s17, v2
	v_cmp_eq_u32_e32 vcc, 0, v2
	s_and_saveexec_b64 s[18:19], vcc
	s_cbranch_execz .LBB6_837
; %bb.836:
	s_bcnt1_i32_b64 s16, s[16:17]
	v_mov_b32_e32 v2, s16
	s_waitcnt vmcnt(0)
	global_atomic_add_x2 v[0:1], v[2:3], off offset:8
.LBB6_837:
	s_or_b64 exec, exec, s[18:19]
	s_waitcnt vmcnt(0)
	global_load_dwordx2 v[2:3], v[0:1], off offset:16
	s_waitcnt vmcnt(0)
	v_cmp_eq_u64_e32 vcc, 0, v[2:3]
	s_cbranch_vccnz .LBB6_839
; %bb.838:
	global_load_dword v0, v[0:1], off offset:24
	v_mov_b32_e32 v1, 0
	s_waitcnt vmcnt(0)
	global_store_dwordx2 v[2:3], v[0:1], off
	v_and_b32_e32 v0, 0xffffff, v0
	v_readfirstlane_b32 m0, v0
	s_sendmsg sendmsg(MSG_INTERRUPT)
.LBB6_839:
	s_or_b64 exec, exec, s[14:15]
	s_branch .LBB6_843
.LBB6_840:                              ;   in Loop: Header=BB6_843 Depth=1
	s_or_b64 exec, exec, s[14:15]
	v_readfirstlane_b32 s14, v0
	s_cmp_eq_u32 s14, 0
	s_cbranch_scc1 .LBB6_842
; %bb.841:                              ;   in Loop: Header=BB6_843 Depth=1
	s_sleep 1
	s_cbranch_execnz .LBB6_843
	s_branch .LBB6_845
.LBB6_842:
	s_branch .LBB6_845
.LBB6_843:                              ; =>This Inner Loop Header: Depth=1
	v_mov_b32_e32 v0, 1
	s_and_saveexec_b64 s[14:15], s[4:5]
	s_cbranch_execz .LBB6_840
; %bb.844:                              ;   in Loop: Header=BB6_843 Depth=1
	global_load_dword v0, v[10:11], off offset:20 glc
	s_waitcnt vmcnt(0)
	buffer_wbinvl1_vol
	v_and_b32_e32 v0, 1, v0
	s_branch .LBB6_840
.LBB6_845:
	s_and_saveexec_b64 s[14:15], s[4:5]
	s_cbranch_execz .LBB6_848
; %bb.846:
	v_mov_b32_e32 v6, 0
	global_load_dwordx2 v[2:3], v6, s[6:7] offset:40
	global_load_dwordx2 v[7:8], v6, s[6:7] offset:24 glc
	global_load_dwordx2 v[4:5], v6, s[6:7]
	v_mov_b32_e32 v1, s13
	s_mov_b64 s[4:5], 0
	s_waitcnt vmcnt(2)
	v_add_co_u32_e32 v9, vcc, 1, v2
	v_addc_co_u32_e32 v10, vcc, 0, v3, vcc
	v_add_co_u32_e32 v0, vcc, s12, v9
	v_addc_co_u32_e32 v1, vcc, v10, v1, vcc
	v_cmp_eq_u64_e32 vcc, 0, v[0:1]
	v_cndmask_b32_e32 v1, v1, v10, vcc
	v_cndmask_b32_e32 v0, v0, v9, vcc
	v_and_b32_e32 v3, v1, v3
	v_and_b32_e32 v2, v0, v2
	v_mul_lo_u32 v3, v3, 24
	v_mul_hi_u32 v9, v2, 24
	v_mul_lo_u32 v10, v2, 24
	s_waitcnt vmcnt(1)
	v_mov_b32_e32 v2, v7
	v_add_u32_e32 v3, v9, v3
	s_waitcnt vmcnt(0)
	v_add_co_u32_e32 v4, vcc, v4, v10
	v_addc_co_u32_e32 v5, vcc, v5, v3, vcc
	global_store_dwordx2 v[4:5], v[7:8], off
	v_mov_b32_e32 v3, v8
	s_waitcnt vmcnt(0)
	global_atomic_cmpswap_x2 v[2:3], v6, v[0:3], s[6:7] offset:24 glc
	s_waitcnt vmcnt(0)
	v_cmp_ne_u64_e32 vcc, v[2:3], v[7:8]
	s_and_b64 exec, exec, vcc
	s_cbranch_execz .LBB6_848
.LBB6_847:                              ; =>This Inner Loop Header: Depth=1
	s_sleep 1
	global_store_dwordx2 v[4:5], v[2:3], off
	s_waitcnt vmcnt(0)
	global_atomic_cmpswap_x2 v[7:8], v6, v[0:3], s[6:7] offset:24 glc
	s_waitcnt vmcnt(0)
	v_cmp_eq_u64_e32 vcc, v[7:8], v[2:3]
	v_mov_b32_e32 v2, v7
	s_or_b64 s[4:5], vcc, s[4:5]
	v_mov_b32_e32 v3, v8
	s_andn2_b64 exec, exec, s[4:5]
	s_cbranch_execnz .LBB6_847
.LBB6_848:
	s_or_b64 exec, exec, s[14:15]
	v_readfirstlane_b32 s4, v32
	v_mov_b32_e32 v5, 0
	v_mov_b32_e32 v6, 0
	v_cmp_eq_u32_e64 s[4:5], s4, v32
	s_and_saveexec_b64 s[12:13], s[4:5]
	s_cbranch_execz .LBB6_854
; %bb.849:
	v_mov_b32_e32 v0, 0
	global_load_dwordx2 v[3:4], v0, s[6:7] offset:24 glc
	s_waitcnt vmcnt(0)
	buffer_wbinvl1_vol
	global_load_dwordx2 v[1:2], v0, s[6:7] offset:40
	global_load_dwordx2 v[5:6], v0, s[6:7]
	s_waitcnt vmcnt(1)
	v_and_b32_e32 v1, v1, v3
	v_and_b32_e32 v2, v2, v4
	v_mul_lo_u32 v2, v2, 24
	v_mul_hi_u32 v7, v1, 24
	v_mul_lo_u32 v1, v1, 24
	v_add_u32_e32 v2, v7, v2
	s_waitcnt vmcnt(0)
	v_add_co_u32_e32 v1, vcc, v5, v1
	v_addc_co_u32_e32 v2, vcc, v6, v2, vcc
	global_load_dwordx2 v[1:2], v[1:2], off glc
	s_waitcnt vmcnt(0)
	global_atomic_cmpswap_x2 v[5:6], v0, v[1:4], s[6:7] offset:24 glc
	s_waitcnt vmcnt(0)
	buffer_wbinvl1_vol
	v_cmp_ne_u64_e32 vcc, v[5:6], v[3:4]
	s_and_saveexec_b64 s[14:15], vcc
	s_cbranch_execz .LBB6_853
; %bb.850:
	s_mov_b64 s[16:17], 0
.LBB6_851:                              ; =>This Inner Loop Header: Depth=1
	s_sleep 1
	global_load_dwordx2 v[1:2], v0, s[6:7] offset:40
	global_load_dwordx2 v[7:8], v0, s[6:7]
	v_mov_b32_e32 v3, v5
	v_mov_b32_e32 v4, v6
	s_waitcnt vmcnt(1)
	v_and_b32_e32 v1, v1, v3
	s_waitcnt vmcnt(0)
	v_mad_u64_u32 v[5:6], s[18:19], v1, 24, v[7:8]
	v_and_b32_e32 v2, v2, v4
	v_mov_b32_e32 v1, v6
	v_mad_u64_u32 v[1:2], s[18:19], v2, 24, v[1:2]
	v_mov_b32_e32 v6, v1
	global_load_dwordx2 v[1:2], v[5:6], off glc
	s_waitcnt vmcnt(0)
	global_atomic_cmpswap_x2 v[5:6], v0, v[1:4], s[6:7] offset:24 glc
	s_waitcnt vmcnt(0)
	buffer_wbinvl1_vol
	v_cmp_eq_u64_e32 vcc, v[5:6], v[3:4]
	s_or_b64 s[16:17], vcc, s[16:17]
	s_andn2_b64 exec, exec, s[16:17]
	s_cbranch_execnz .LBB6_851
; %bb.852:
	s_or_b64 exec, exec, s[16:17]
.LBB6_853:
	s_or_b64 exec, exec, s[14:15]
.LBB6_854:
	s_or_b64 exec, exec, s[12:13]
	v_mov_b32_e32 v4, 0
	global_load_dwordx2 v[7:8], v4, s[6:7] offset:40
	global_load_dwordx4 v[0:3], v4, s[6:7]
	v_readfirstlane_b32 s12, v5
	v_readfirstlane_b32 s13, v6
	s_mov_b64 s[14:15], exec
	s_waitcnt vmcnt(1)
	v_readfirstlane_b32 s16, v7
	v_readfirstlane_b32 s17, v8
	s_and_b64 s[16:17], s[12:13], s[16:17]
	s_mul_i32 s18, s17, 24
	s_mul_hi_u32 s19, s16, 24
	s_mul_i32 s20, s16, 24
	s_add_i32 s18, s19, s18
	v_mov_b32_e32 v5, s18
	s_waitcnt vmcnt(0)
	v_add_co_u32_e32 v7, vcc, s20, v0
	v_addc_co_u32_e32 v8, vcc, v1, v5, vcc
	s_and_saveexec_b64 s[18:19], s[4:5]
	s_cbranch_execz .LBB6_856
; %bb.855:
	v_mov_b32_e32 v9, s14
	v_mov_b32_e32 v10, s15
	v_mov_b32_e32 v11, 2
	v_mov_b32_e32 v12, 1
	global_store_dwordx4 v[7:8], v[9:12], off offset:8
.LBB6_856:
	s_or_b64 exec, exec, s[18:19]
	s_lshl_b64 s[14:15], s[16:17], 12
	v_mov_b32_e32 v5, s15
	v_add_co_u32_e32 v2, vcc, s14, v2
	v_addc_co_u32_e32 v11, vcc, v3, v5, vcc
	s_mov_b32 s16, 0
	v_mov_b32_e32 v3, 33
	v_mov_b32_e32 v5, v4
	;; [unrolled: 1-line block ×3, first 2 shown]
	v_readfirstlane_b32 s14, v2
	v_readfirstlane_b32 s15, v11
	v_add_co_u32_e32 v9, vcc, v2, v31
	s_mov_b32 s17, s16
	s_mov_b32 s18, s16
	;; [unrolled: 1-line block ×3, first 2 shown]
	s_nop 0
	global_store_dwordx4 v31, v[3:6], s[14:15]
	v_mov_b32_e32 v2, s16
	v_addc_co_u32_e32 v10, vcc, 0, v11, vcc
	v_mov_b32_e32 v3, s17
	v_mov_b32_e32 v4, s18
	;; [unrolled: 1-line block ×3, first 2 shown]
	global_store_dwordx4 v31, v[2:5], s[14:15] offset:16
	global_store_dwordx4 v31, v[2:5], s[14:15] offset:32
	;; [unrolled: 1-line block ×3, first 2 shown]
	s_and_saveexec_b64 s[14:15], s[4:5]
	s_cbranch_execz .LBB6_864
; %bb.857:
	v_mov_b32_e32 v6, 0
	global_load_dwordx2 v[13:14], v6, s[6:7] offset:32 glc
	global_load_dwordx2 v[2:3], v6, s[6:7] offset:40
	v_mov_b32_e32 v11, s12
	v_mov_b32_e32 v12, s13
	s_waitcnt vmcnt(0)
	v_readfirstlane_b32 s16, v2
	v_readfirstlane_b32 s17, v3
	s_and_b64 s[16:17], s[16:17], s[12:13]
	s_mul_i32 s17, s17, 24
	s_mul_hi_u32 s18, s16, 24
	s_mul_i32 s16, s16, 24
	s_add_i32 s17, s18, s17
	v_mov_b32_e32 v2, s17
	v_add_co_u32_e32 v4, vcc, s16, v0
	v_addc_co_u32_e32 v5, vcc, v1, v2, vcc
	global_store_dwordx2 v[4:5], v[13:14], off
	s_waitcnt vmcnt(0)
	global_atomic_cmpswap_x2 v[2:3], v6, v[11:14], s[6:7] offset:32 glc
	s_waitcnt vmcnt(0)
	v_cmp_ne_u64_e32 vcc, v[2:3], v[13:14]
	s_and_saveexec_b64 s[16:17], vcc
	s_cbranch_execz .LBB6_860
; %bb.858:
	s_mov_b64 s[18:19], 0
.LBB6_859:                              ; =>This Inner Loop Header: Depth=1
	s_sleep 1
	global_store_dwordx2 v[4:5], v[2:3], off
	v_mov_b32_e32 v0, s12
	v_mov_b32_e32 v1, s13
	s_waitcnt vmcnt(0)
	global_atomic_cmpswap_x2 v[0:1], v6, v[0:3], s[6:7] offset:32 glc
	s_waitcnt vmcnt(0)
	v_cmp_eq_u64_e32 vcc, v[0:1], v[2:3]
	v_mov_b32_e32 v3, v1
	s_or_b64 s[18:19], vcc, s[18:19]
	v_mov_b32_e32 v2, v0
	s_andn2_b64 exec, exec, s[18:19]
	s_cbranch_execnz .LBB6_859
.LBB6_860:
	s_or_b64 exec, exec, s[16:17]
	v_mov_b32_e32 v3, 0
	global_load_dwordx2 v[0:1], v3, s[6:7] offset:16
	s_mov_b64 s[16:17], exec
	v_mbcnt_lo_u32_b32 v2, s16, 0
	v_mbcnt_hi_u32_b32 v2, s17, v2
	v_cmp_eq_u32_e32 vcc, 0, v2
	s_and_saveexec_b64 s[18:19], vcc
	s_cbranch_execz .LBB6_862
; %bb.861:
	s_bcnt1_i32_b64 s16, s[16:17]
	v_mov_b32_e32 v2, s16
	s_waitcnt vmcnt(0)
	global_atomic_add_x2 v[0:1], v[2:3], off offset:8
.LBB6_862:
	s_or_b64 exec, exec, s[18:19]
	s_waitcnt vmcnt(0)
	global_load_dwordx2 v[2:3], v[0:1], off offset:16
	s_waitcnt vmcnt(0)
	v_cmp_eq_u64_e32 vcc, 0, v[2:3]
	s_cbranch_vccnz .LBB6_864
; %bb.863:
	global_load_dword v0, v[0:1], off offset:24
	v_mov_b32_e32 v1, 0
	s_waitcnt vmcnt(0)
	global_store_dwordx2 v[2:3], v[0:1], off
	v_and_b32_e32 v0, 0xffffff, v0
	v_readfirstlane_b32 m0, v0
	s_sendmsg sendmsg(MSG_INTERRUPT)
.LBB6_864:
	s_or_b64 exec, exec, s[14:15]
	s_branch .LBB6_868
.LBB6_865:                              ;   in Loop: Header=BB6_868 Depth=1
	s_or_b64 exec, exec, s[14:15]
	v_readfirstlane_b32 s14, v0
	s_cmp_eq_u32 s14, 0
	s_cbranch_scc1 .LBB6_867
; %bb.866:                              ;   in Loop: Header=BB6_868 Depth=1
	s_sleep 1
	s_cbranch_execnz .LBB6_868
	s_branch .LBB6_870
.LBB6_867:
	s_branch .LBB6_870
.LBB6_868:                              ; =>This Inner Loop Header: Depth=1
	v_mov_b32_e32 v0, 1
	s_and_saveexec_b64 s[14:15], s[4:5]
	s_cbranch_execz .LBB6_865
; %bb.869:                              ;   in Loop: Header=BB6_868 Depth=1
	global_load_dword v0, v[7:8], off offset:20 glc
	s_waitcnt vmcnt(0)
	buffer_wbinvl1_vol
	v_and_b32_e32 v0, 1, v0
	s_branch .LBB6_865
.LBB6_870:
	global_load_dwordx2 v[0:1], v[9:10], off
	s_and_saveexec_b64 s[14:15], s[4:5]
	s_cbranch_execz .LBB6_873
; %bb.871:
	v_mov_b32_e32 v8, 0
	global_load_dwordx2 v[4:5], v8, s[6:7] offset:40
	global_load_dwordx2 v[9:10], v8, s[6:7] offset:24 glc
	global_load_dwordx2 v[6:7], v8, s[6:7]
	v_mov_b32_e32 v3, s13
	s_mov_b64 s[4:5], 0
	s_waitcnt vmcnt(2)
	v_add_co_u32_e32 v11, vcc, 1, v4
	v_addc_co_u32_e32 v12, vcc, 0, v5, vcc
	v_add_co_u32_e32 v2, vcc, s12, v11
	v_addc_co_u32_e32 v3, vcc, v12, v3, vcc
	v_cmp_eq_u64_e32 vcc, 0, v[2:3]
	v_cndmask_b32_e32 v3, v3, v12, vcc
	v_cndmask_b32_e32 v2, v2, v11, vcc
	v_and_b32_e32 v5, v3, v5
	v_and_b32_e32 v4, v2, v4
	v_mul_lo_u32 v5, v5, 24
	v_mul_hi_u32 v11, v4, 24
	v_mul_lo_u32 v12, v4, 24
	s_waitcnt vmcnt(1)
	v_mov_b32_e32 v4, v9
	v_add_u32_e32 v5, v11, v5
	s_waitcnt vmcnt(0)
	v_add_co_u32_e32 v6, vcc, v6, v12
	v_addc_co_u32_e32 v7, vcc, v7, v5, vcc
	global_store_dwordx2 v[6:7], v[9:10], off
	v_mov_b32_e32 v5, v10
	s_waitcnt vmcnt(0)
	global_atomic_cmpswap_x2 v[4:5], v8, v[2:5], s[6:7] offset:24 glc
	s_waitcnt vmcnt(0)
	v_cmp_ne_u64_e32 vcc, v[4:5], v[9:10]
	s_and_b64 exec, exec, vcc
	s_cbranch_execz .LBB6_873
.LBB6_872:                              ; =>This Inner Loop Header: Depth=1
	s_sleep 1
	global_store_dwordx2 v[6:7], v[4:5], off
	s_waitcnt vmcnt(0)
	global_atomic_cmpswap_x2 v[9:10], v8, v[2:5], s[6:7] offset:24 glc
	s_waitcnt vmcnt(0)
	v_cmp_eq_u64_e32 vcc, v[9:10], v[4:5]
	v_mov_b32_e32 v4, v9
	s_or_b64 s[4:5], vcc, s[4:5]
	v_mov_b32_e32 v5, v10
	s_andn2_b64 exec, exec, s[4:5]
	s_cbranch_execnz .LBB6_872
.LBB6_873:
	s_or_b64 exec, exec, s[14:15]
	s_getpc_b64 s[12:13]
	s_add_u32 s12, s12, .str.7@rel32@lo+4
	s_addc_u32 s13, s13, .str.7@rel32@hi+12
	s_cmp_lg_u64 s[12:13], 0
	s_cbranch_scc0 .LBB6_958
; %bb.874:
	s_waitcnt vmcnt(0)
	v_and_b32_e32 v33, 2, v0
	v_mov_b32_e32 v28, 0
	v_and_b32_e32 v2, -3, v0
	v_mov_b32_e32 v3, v1
	s_mov_b64 s[14:15], 4
	v_mov_b32_e32 v6, 2
	v_mov_b32_e32 v7, 1
	s_branch .LBB6_876
.LBB6_875:                              ;   in Loop: Header=BB6_876 Depth=1
	s_or_b64 exec, exec, s[20:21]
	s_sub_u32 s14, s14, s16
	s_subb_u32 s15, s15, s17
	s_add_u32 s12, s12, s16
	s_addc_u32 s13, s13, s17
	s_cmp_lg_u64 s[14:15], 0
	s_cbranch_scc0 .LBB6_957
.LBB6_876:                              ; =>This Loop Header: Depth=1
                                        ;     Child Loop BB6_879 Depth 2
                                        ;     Child Loop BB6_886 Depth 2
	;; [unrolled: 1-line block ×11, first 2 shown]
	v_cmp_lt_u64_e64 s[4:5], s[14:15], 56
	v_cmp_gt_u64_e64 s[18:19], s[14:15], 7
	s_and_b64 s[4:5], s[4:5], exec
	s_cselect_b32 s17, s15, 0
	s_cselect_b32 s16, s14, 56
	s_and_b64 vcc, exec, s[18:19]
	s_cbranch_vccnz .LBB6_881
; %bb.877:                              ;   in Loop: Header=BB6_876 Depth=1
	v_mov_b32_e32 v10, 0
	s_cmp_eq_u64 s[14:15], 0
	v_mov_b32_e32 v11, 0
	s_mov_b64 s[4:5], 0
	s_cbranch_scc1 .LBB6_880
; %bb.878:                              ;   in Loop: Header=BB6_876 Depth=1
	v_mov_b32_e32 v10, 0
	s_lshl_b64 s[18:19], s[16:17], 3
	s_mov_b64 s[20:21], 0
	v_mov_b32_e32 v11, 0
	s_mov_b64 s[22:23], s[12:13]
.LBB6_879:                              ;   Parent Loop BB6_876 Depth=1
                                        ; =>  This Inner Loop Header: Depth=2
	global_load_ubyte v4, v28, s[22:23]
	s_waitcnt vmcnt(0)
	v_and_b32_e32 v27, 0xffff, v4
	v_lshlrev_b64 v[4:5], s20, v[27:28]
	s_add_u32 s20, s20, 8
	s_addc_u32 s21, s21, 0
	s_add_u32 s22, s22, 1
	s_addc_u32 s23, s23, 0
	v_or_b32_e32 v10, v4, v10
	s_cmp_lg_u32 s18, s20
	v_or_b32_e32 v11, v5, v11
	s_cbranch_scc1 .LBB6_879
.LBB6_880:                              ;   in Loop: Header=BB6_876 Depth=1
	s_mov_b32 s22, 0
	s_andn2_b64 vcc, exec, s[4:5]
	s_mov_b64 s[4:5], s[12:13]
	s_cbranch_vccz .LBB6_882
	s_branch .LBB6_883
.LBB6_881:                              ;   in Loop: Header=BB6_876 Depth=1
                                        ; implicit-def: $vgpr10_vgpr11
                                        ; implicit-def: $sgpr22
	s_mov_b64 s[4:5], s[12:13]
.LBB6_882:                              ;   in Loop: Header=BB6_876 Depth=1
	global_load_dwordx2 v[10:11], v28, s[12:13]
	s_add_i32 s22, s16, -8
	s_add_u32 s4, s12, 8
	s_addc_u32 s5, s13, 0
.LBB6_883:                              ;   in Loop: Header=BB6_876 Depth=1
	s_cmp_gt_u32 s22, 7
	s_cbranch_scc1 .LBB6_887
; %bb.884:                              ;   in Loop: Header=BB6_876 Depth=1
	s_cmp_eq_u32 s22, 0
	s_cbranch_scc1 .LBB6_888
; %bb.885:                              ;   in Loop: Header=BB6_876 Depth=1
	v_mov_b32_e32 v12, 0
	s_mov_b64 s[18:19], 0
	v_mov_b32_e32 v13, 0
	s_mov_b64 s[20:21], 0
.LBB6_886:                              ;   Parent Loop BB6_876 Depth=1
                                        ; =>  This Inner Loop Header: Depth=2
	s_add_u32 s24, s4, s20
	s_addc_u32 s25, s5, s21
	global_load_ubyte v4, v28, s[24:25]
	s_add_u32 s20, s20, 1
	s_addc_u32 s21, s21, 0
	s_waitcnt vmcnt(0)
	v_and_b32_e32 v27, 0xffff, v4
	v_lshlrev_b64 v[4:5], s18, v[27:28]
	s_add_u32 s18, s18, 8
	s_addc_u32 s19, s19, 0
	v_or_b32_e32 v12, v4, v12
	s_cmp_lg_u32 s22, s20
	v_or_b32_e32 v13, v5, v13
	s_cbranch_scc1 .LBB6_886
	s_branch .LBB6_889
.LBB6_887:                              ;   in Loop: Header=BB6_876 Depth=1
                                        ; implicit-def: $vgpr12_vgpr13
                                        ; implicit-def: $sgpr23
	s_branch .LBB6_890
.LBB6_888:                              ;   in Loop: Header=BB6_876 Depth=1
	v_mov_b32_e32 v12, 0
	v_mov_b32_e32 v13, 0
.LBB6_889:                              ;   in Loop: Header=BB6_876 Depth=1
	s_mov_b32 s23, 0
	s_cbranch_execnz .LBB6_891
.LBB6_890:                              ;   in Loop: Header=BB6_876 Depth=1
	global_load_dwordx2 v[12:13], v28, s[4:5]
	s_add_i32 s23, s22, -8
	s_add_u32 s4, s4, 8
	s_addc_u32 s5, s5, 0
.LBB6_891:                              ;   in Loop: Header=BB6_876 Depth=1
	s_cmp_gt_u32 s23, 7
	s_cbranch_scc1 .LBB6_895
; %bb.892:                              ;   in Loop: Header=BB6_876 Depth=1
	s_cmp_eq_u32 s23, 0
	s_cbranch_scc1 .LBB6_896
; %bb.893:                              ;   in Loop: Header=BB6_876 Depth=1
	v_mov_b32_e32 v14, 0
	s_mov_b64 s[18:19], 0
	v_mov_b32_e32 v15, 0
	s_mov_b64 s[20:21], 0
.LBB6_894:                              ;   Parent Loop BB6_876 Depth=1
                                        ; =>  This Inner Loop Header: Depth=2
	s_add_u32 s24, s4, s20
	s_addc_u32 s25, s5, s21
	global_load_ubyte v4, v28, s[24:25]
	s_add_u32 s20, s20, 1
	s_addc_u32 s21, s21, 0
	s_waitcnt vmcnt(0)
	v_and_b32_e32 v27, 0xffff, v4
	v_lshlrev_b64 v[4:5], s18, v[27:28]
	s_add_u32 s18, s18, 8
	s_addc_u32 s19, s19, 0
	v_or_b32_e32 v14, v4, v14
	s_cmp_lg_u32 s23, s20
	v_or_b32_e32 v15, v5, v15
	s_cbranch_scc1 .LBB6_894
	s_branch .LBB6_897
.LBB6_895:                              ;   in Loop: Header=BB6_876 Depth=1
                                        ; implicit-def: $sgpr22
	s_branch .LBB6_898
.LBB6_896:                              ;   in Loop: Header=BB6_876 Depth=1
	v_mov_b32_e32 v14, 0
	v_mov_b32_e32 v15, 0
.LBB6_897:                              ;   in Loop: Header=BB6_876 Depth=1
	s_mov_b32 s22, 0
	s_cbranch_execnz .LBB6_899
.LBB6_898:                              ;   in Loop: Header=BB6_876 Depth=1
	global_load_dwordx2 v[14:15], v28, s[4:5]
	s_add_i32 s22, s23, -8
	s_add_u32 s4, s4, 8
	s_addc_u32 s5, s5, 0
.LBB6_899:                              ;   in Loop: Header=BB6_876 Depth=1
	s_cmp_gt_u32 s22, 7
	s_cbranch_scc1 .LBB6_903
; %bb.900:                              ;   in Loop: Header=BB6_876 Depth=1
	s_cmp_eq_u32 s22, 0
	s_cbranch_scc1 .LBB6_904
; %bb.901:                              ;   in Loop: Header=BB6_876 Depth=1
	v_mov_b32_e32 v16, 0
	s_mov_b64 s[18:19], 0
	v_mov_b32_e32 v17, 0
	s_mov_b64 s[20:21], 0
.LBB6_902:                              ;   Parent Loop BB6_876 Depth=1
                                        ; =>  This Inner Loop Header: Depth=2
	s_add_u32 s24, s4, s20
	s_addc_u32 s25, s5, s21
	global_load_ubyte v4, v28, s[24:25]
	s_add_u32 s20, s20, 1
	s_addc_u32 s21, s21, 0
	s_waitcnt vmcnt(0)
	v_and_b32_e32 v27, 0xffff, v4
	v_lshlrev_b64 v[4:5], s18, v[27:28]
	s_add_u32 s18, s18, 8
	s_addc_u32 s19, s19, 0
	v_or_b32_e32 v16, v4, v16
	s_cmp_lg_u32 s22, s20
	v_or_b32_e32 v17, v5, v17
	s_cbranch_scc1 .LBB6_902
	s_branch .LBB6_905
.LBB6_903:                              ;   in Loop: Header=BB6_876 Depth=1
                                        ; implicit-def: $vgpr16_vgpr17
                                        ; implicit-def: $sgpr23
	s_branch .LBB6_906
.LBB6_904:                              ;   in Loop: Header=BB6_876 Depth=1
	v_mov_b32_e32 v16, 0
	v_mov_b32_e32 v17, 0
.LBB6_905:                              ;   in Loop: Header=BB6_876 Depth=1
	s_mov_b32 s23, 0
	s_cbranch_execnz .LBB6_907
.LBB6_906:                              ;   in Loop: Header=BB6_876 Depth=1
	global_load_dwordx2 v[16:17], v28, s[4:5]
	s_add_i32 s23, s22, -8
	s_add_u32 s4, s4, 8
	s_addc_u32 s5, s5, 0
.LBB6_907:                              ;   in Loop: Header=BB6_876 Depth=1
	s_cmp_gt_u32 s23, 7
	s_cbranch_scc1 .LBB6_911
; %bb.908:                              ;   in Loop: Header=BB6_876 Depth=1
	s_cmp_eq_u32 s23, 0
	s_cbranch_scc1 .LBB6_912
; %bb.909:                              ;   in Loop: Header=BB6_876 Depth=1
	v_mov_b32_e32 v18, 0
	s_mov_b64 s[18:19], 0
	v_mov_b32_e32 v19, 0
	s_mov_b64 s[20:21], 0
.LBB6_910:                              ;   Parent Loop BB6_876 Depth=1
                                        ; =>  This Inner Loop Header: Depth=2
	s_add_u32 s24, s4, s20
	s_addc_u32 s25, s5, s21
	global_load_ubyte v4, v28, s[24:25]
	s_add_u32 s20, s20, 1
	s_addc_u32 s21, s21, 0
	s_waitcnt vmcnt(0)
	v_and_b32_e32 v27, 0xffff, v4
	v_lshlrev_b64 v[4:5], s18, v[27:28]
	s_add_u32 s18, s18, 8
	s_addc_u32 s19, s19, 0
	v_or_b32_e32 v18, v4, v18
	s_cmp_lg_u32 s23, s20
	v_or_b32_e32 v19, v5, v19
	s_cbranch_scc1 .LBB6_910
	s_branch .LBB6_913
.LBB6_911:                              ;   in Loop: Header=BB6_876 Depth=1
                                        ; implicit-def: $sgpr22
	s_branch .LBB6_914
.LBB6_912:                              ;   in Loop: Header=BB6_876 Depth=1
	v_mov_b32_e32 v18, 0
	v_mov_b32_e32 v19, 0
.LBB6_913:                              ;   in Loop: Header=BB6_876 Depth=1
	s_mov_b32 s22, 0
	s_cbranch_execnz .LBB6_915
.LBB6_914:                              ;   in Loop: Header=BB6_876 Depth=1
	global_load_dwordx2 v[18:19], v28, s[4:5]
	s_add_i32 s22, s23, -8
	s_add_u32 s4, s4, 8
	s_addc_u32 s5, s5, 0
.LBB6_915:                              ;   in Loop: Header=BB6_876 Depth=1
	s_cmp_gt_u32 s22, 7
	s_cbranch_scc1 .LBB6_919
; %bb.916:                              ;   in Loop: Header=BB6_876 Depth=1
	s_cmp_eq_u32 s22, 0
	s_cbranch_scc1 .LBB6_920
; %bb.917:                              ;   in Loop: Header=BB6_876 Depth=1
	v_mov_b32_e32 v20, 0
	s_mov_b64 s[18:19], 0
	v_mov_b32_e32 v21, 0
	s_mov_b64 s[20:21], 0
.LBB6_918:                              ;   Parent Loop BB6_876 Depth=1
                                        ; =>  This Inner Loop Header: Depth=2
	s_add_u32 s24, s4, s20
	s_addc_u32 s25, s5, s21
	global_load_ubyte v4, v28, s[24:25]
	s_add_u32 s20, s20, 1
	s_addc_u32 s21, s21, 0
	s_waitcnt vmcnt(0)
	v_and_b32_e32 v27, 0xffff, v4
	v_lshlrev_b64 v[4:5], s18, v[27:28]
	s_add_u32 s18, s18, 8
	s_addc_u32 s19, s19, 0
	v_or_b32_e32 v20, v4, v20
	s_cmp_lg_u32 s22, s20
	v_or_b32_e32 v21, v5, v21
	s_cbranch_scc1 .LBB6_918
	s_branch .LBB6_921
.LBB6_919:                              ;   in Loop: Header=BB6_876 Depth=1
                                        ; implicit-def: $vgpr20_vgpr21
                                        ; implicit-def: $sgpr23
	s_branch .LBB6_922
.LBB6_920:                              ;   in Loop: Header=BB6_876 Depth=1
	v_mov_b32_e32 v20, 0
	v_mov_b32_e32 v21, 0
.LBB6_921:                              ;   in Loop: Header=BB6_876 Depth=1
	s_mov_b32 s23, 0
	s_cbranch_execnz .LBB6_923
.LBB6_922:                              ;   in Loop: Header=BB6_876 Depth=1
	global_load_dwordx2 v[20:21], v28, s[4:5]
	s_add_i32 s23, s22, -8
	s_add_u32 s4, s4, 8
	s_addc_u32 s5, s5, 0
.LBB6_923:                              ;   in Loop: Header=BB6_876 Depth=1
	s_cmp_gt_u32 s23, 7
	s_cbranch_scc1 .LBB6_927
; %bb.924:                              ;   in Loop: Header=BB6_876 Depth=1
	s_cmp_eq_u32 s23, 0
	s_cbranch_scc1 .LBB6_928
; %bb.925:                              ;   in Loop: Header=BB6_876 Depth=1
	v_mov_b32_e32 v22, 0
	s_mov_b64 s[18:19], 0
	v_mov_b32_e32 v23, 0
	s_mov_b64 s[20:21], s[4:5]
.LBB6_926:                              ;   Parent Loop BB6_876 Depth=1
                                        ; =>  This Inner Loop Header: Depth=2
	global_load_ubyte v4, v28, s[20:21]
	s_add_i32 s23, s23, -1
	s_waitcnt vmcnt(0)
	v_and_b32_e32 v27, 0xffff, v4
	v_lshlrev_b64 v[4:5], s18, v[27:28]
	s_add_u32 s18, s18, 8
	s_addc_u32 s19, s19, 0
	s_add_u32 s20, s20, 1
	s_addc_u32 s21, s21, 0
	v_or_b32_e32 v22, v4, v22
	s_cmp_lg_u32 s23, 0
	v_or_b32_e32 v23, v5, v23
	s_cbranch_scc1 .LBB6_926
	s_branch .LBB6_929
.LBB6_927:                              ;   in Loop: Header=BB6_876 Depth=1
	s_branch .LBB6_930
.LBB6_928:                              ;   in Loop: Header=BB6_876 Depth=1
	v_mov_b32_e32 v22, 0
	v_mov_b32_e32 v23, 0
.LBB6_929:                              ;   in Loop: Header=BB6_876 Depth=1
	s_cbranch_execnz .LBB6_931
.LBB6_930:                              ;   in Loop: Header=BB6_876 Depth=1
	global_load_dwordx2 v[22:23], v28, s[4:5]
.LBB6_931:                              ;   in Loop: Header=BB6_876 Depth=1
	v_readfirstlane_b32 s4, v32
	s_waitcnt vmcnt(0)
	v_mov_b32_e32 v4, 0
	v_mov_b32_e32 v5, 0
	v_cmp_eq_u32_e64 s[4:5], s4, v32
	s_and_saveexec_b64 s[18:19], s[4:5]
	s_cbranch_execz .LBB6_937
; %bb.932:                              ;   in Loop: Header=BB6_876 Depth=1
	global_load_dwordx2 v[26:27], v28, s[6:7] offset:24 glc
	s_waitcnt vmcnt(0)
	buffer_wbinvl1_vol
	global_load_dwordx2 v[4:5], v28, s[6:7] offset:40
	global_load_dwordx2 v[8:9], v28, s[6:7]
	s_waitcnt vmcnt(1)
	v_and_b32_e32 v4, v4, v26
	v_and_b32_e32 v5, v5, v27
	v_mul_lo_u32 v5, v5, 24
	v_mul_hi_u32 v24, v4, 24
	v_mul_lo_u32 v4, v4, 24
	v_add_u32_e32 v5, v24, v5
	s_waitcnt vmcnt(0)
	v_add_co_u32_e32 v4, vcc, v8, v4
	v_addc_co_u32_e32 v5, vcc, v9, v5, vcc
	global_load_dwordx2 v[24:25], v[4:5], off glc
	s_waitcnt vmcnt(0)
	global_atomic_cmpswap_x2 v[4:5], v28, v[24:27], s[6:7] offset:24 glc
	s_waitcnt vmcnt(0)
	buffer_wbinvl1_vol
	v_cmp_ne_u64_e32 vcc, v[4:5], v[26:27]
	s_and_saveexec_b64 s[20:21], vcc
	s_cbranch_execz .LBB6_936
; %bb.933:                              ;   in Loop: Header=BB6_876 Depth=1
	s_mov_b64 s[22:23], 0
.LBB6_934:                              ;   Parent Loop BB6_876 Depth=1
                                        ; =>  This Inner Loop Header: Depth=2
	s_sleep 1
	global_load_dwordx2 v[8:9], v28, s[6:7] offset:40
	global_load_dwordx2 v[24:25], v28, s[6:7]
	v_mov_b32_e32 v27, v5
	v_mov_b32_e32 v26, v4
	s_waitcnt vmcnt(1)
	v_and_b32_e32 v4, v8, v26
	s_waitcnt vmcnt(0)
	v_mad_u64_u32 v[4:5], s[24:25], v4, 24, v[24:25]
	v_and_b32_e32 v8, v9, v27
	v_mad_u64_u32 v[8:9], s[24:25], v8, 24, v[5:6]
	v_mov_b32_e32 v5, v8
	global_load_dwordx2 v[24:25], v[4:5], off glc
	s_waitcnt vmcnt(0)
	global_atomic_cmpswap_x2 v[4:5], v28, v[24:27], s[6:7] offset:24 glc
	s_waitcnt vmcnt(0)
	buffer_wbinvl1_vol
	v_cmp_eq_u64_e32 vcc, v[4:5], v[26:27]
	s_or_b64 s[22:23], vcc, s[22:23]
	s_andn2_b64 exec, exec, s[22:23]
	s_cbranch_execnz .LBB6_934
; %bb.935:                              ;   in Loop: Header=BB6_876 Depth=1
	s_or_b64 exec, exec, s[22:23]
.LBB6_936:                              ;   in Loop: Header=BB6_876 Depth=1
	s_or_b64 exec, exec, s[20:21]
.LBB6_937:                              ;   in Loop: Header=BB6_876 Depth=1
	s_or_b64 exec, exec, s[18:19]
	global_load_dwordx2 v[8:9], v28, s[6:7] offset:40
	global_load_dwordx4 v[24:27], v28, s[6:7]
	v_readfirstlane_b32 s18, v4
	v_readfirstlane_b32 s19, v5
	s_mov_b64 s[22:23], exec
	s_waitcnt vmcnt(1)
	v_readfirstlane_b32 s20, v8
	v_readfirstlane_b32 s21, v9
	s_and_b64 s[20:21], s[18:19], s[20:21]
	s_mul_i32 s24, s21, 24
	s_mul_hi_u32 s25, s20, 24
	s_mul_i32 s26, s20, 24
	s_add_i32 s24, s25, s24
	v_mov_b32_e32 v4, s24
	s_waitcnt vmcnt(0)
	v_add_co_u32_e32 v29, vcc, s26, v24
	v_addc_co_u32_e32 v30, vcc, v25, v4, vcc
	s_and_saveexec_b64 s[24:25], s[4:5]
	s_cbranch_execz .LBB6_939
; %bb.938:                              ;   in Loop: Header=BB6_876 Depth=1
	v_mov_b32_e32 v4, s22
	v_mov_b32_e32 v5, s23
	global_store_dwordx4 v[29:30], v[4:7], off offset:8
.LBB6_939:                              ;   in Loop: Header=BB6_876 Depth=1
	s_or_b64 exec, exec, s[24:25]
	v_cmp_gt_u64_e64 vcc, s[14:15], 56
	v_or_b32_e32 v4, 0, v3
	v_cndmask_b32_e32 v9, v4, v3, vcc
	v_or_b32_e32 v3, v2, v33
	s_lshl_b32 s22, s16, 2
	v_cndmask_b32_e32 v2, v3, v2, vcc
	s_add_i32 s22, s22, 28
	s_and_b32 s22, s22, 0x1e0
	v_and_b32_e32 v2, 0xffffff1f, v2
	s_lshl_b64 s[20:21], s[20:21], 12
	v_or_b32_e32 v8, s22, v2
	v_mov_b32_e32 v2, s21
	v_add_co_u32_e32 v26, vcc, s20, v26
	v_addc_co_u32_e32 v34, vcc, v27, v2, vcc
	v_readfirstlane_b32 s20, v26
	v_readfirstlane_b32 s21, v34
	s_nop 4
	global_store_dwordx4 v31, v[8:11], s[20:21]
	global_store_dwordx4 v31, v[12:15], s[20:21] offset:16
	global_store_dwordx4 v31, v[16:19], s[20:21] offset:32
	;; [unrolled: 1-line block ×3, first 2 shown]
	s_and_saveexec_b64 s[20:21], s[4:5]
	s_cbranch_execz .LBB6_947
; %bb.940:                              ;   in Loop: Header=BB6_876 Depth=1
	global_load_dwordx2 v[12:13], v28, s[6:7] offset:32 glc
	global_load_dwordx2 v[2:3], v28, s[6:7] offset:40
	v_mov_b32_e32 v10, s18
	v_mov_b32_e32 v11, s19
	s_waitcnt vmcnt(0)
	v_readfirstlane_b32 s22, v2
	v_readfirstlane_b32 s23, v3
	s_and_b64 s[22:23], s[22:23], s[18:19]
	s_mul_i32 s23, s23, 24
	s_mul_hi_u32 s24, s22, 24
	s_mul_i32 s22, s22, 24
	s_add_i32 s23, s24, s23
	v_mov_b32_e32 v2, s23
	v_add_co_u32_e32 v8, vcc, s22, v24
	v_addc_co_u32_e32 v9, vcc, v25, v2, vcc
	global_store_dwordx2 v[8:9], v[12:13], off
	s_waitcnt vmcnt(0)
	global_atomic_cmpswap_x2 v[4:5], v28, v[10:13], s[6:7] offset:32 glc
	s_waitcnt vmcnt(0)
	v_cmp_ne_u64_e32 vcc, v[4:5], v[12:13]
	s_and_saveexec_b64 s[22:23], vcc
	s_cbranch_execz .LBB6_943
; %bb.941:                              ;   in Loop: Header=BB6_876 Depth=1
	s_mov_b64 s[24:25], 0
.LBB6_942:                              ;   Parent Loop BB6_876 Depth=1
                                        ; =>  This Inner Loop Header: Depth=2
	s_sleep 1
	global_store_dwordx2 v[8:9], v[4:5], off
	v_mov_b32_e32 v2, s18
	v_mov_b32_e32 v3, s19
	s_waitcnt vmcnt(0)
	global_atomic_cmpswap_x2 v[2:3], v28, v[2:5], s[6:7] offset:32 glc
	s_waitcnt vmcnt(0)
	v_cmp_eq_u64_e32 vcc, v[2:3], v[4:5]
	v_mov_b32_e32 v5, v3
	s_or_b64 s[24:25], vcc, s[24:25]
	v_mov_b32_e32 v4, v2
	s_andn2_b64 exec, exec, s[24:25]
	s_cbranch_execnz .LBB6_942
.LBB6_943:                              ;   in Loop: Header=BB6_876 Depth=1
	s_or_b64 exec, exec, s[22:23]
	global_load_dwordx2 v[2:3], v28, s[6:7] offset:16
	s_mov_b64 s[24:25], exec
	v_mbcnt_lo_u32_b32 v4, s24, 0
	v_mbcnt_hi_u32_b32 v4, s25, v4
	v_cmp_eq_u32_e32 vcc, 0, v4
	s_and_saveexec_b64 s[22:23], vcc
	s_cbranch_execz .LBB6_945
; %bb.944:                              ;   in Loop: Header=BB6_876 Depth=1
	s_bcnt1_i32_b64 s24, s[24:25]
	v_mov_b32_e32 v27, s24
	s_waitcnt vmcnt(0)
	global_atomic_add_x2 v[2:3], v[27:28], off offset:8
.LBB6_945:                              ;   in Loop: Header=BB6_876 Depth=1
	s_or_b64 exec, exec, s[22:23]
	s_waitcnt vmcnt(0)
	global_load_dwordx2 v[4:5], v[2:3], off offset:16
	s_waitcnt vmcnt(0)
	v_cmp_eq_u64_e32 vcc, 0, v[4:5]
	s_cbranch_vccnz .LBB6_947
; %bb.946:                              ;   in Loop: Header=BB6_876 Depth=1
	global_load_dword v27, v[2:3], off offset:24
	s_waitcnt vmcnt(0)
	v_and_b32_e32 v2, 0xffffff, v27
	v_readfirstlane_b32 m0, v2
	global_store_dwordx2 v[4:5], v[27:28], off
	s_sendmsg sendmsg(MSG_INTERRUPT)
.LBB6_947:                              ;   in Loop: Header=BB6_876 Depth=1
	s_or_b64 exec, exec, s[20:21]
	v_add_co_u32_e32 v2, vcc, v26, v31
	v_addc_co_u32_e32 v3, vcc, 0, v34, vcc
	s_branch .LBB6_951
.LBB6_948:                              ;   in Loop: Header=BB6_951 Depth=2
	s_or_b64 exec, exec, s[20:21]
	v_readfirstlane_b32 s20, v4
	s_cmp_eq_u32 s20, 0
	s_cbranch_scc1 .LBB6_950
; %bb.949:                              ;   in Loop: Header=BB6_951 Depth=2
	s_sleep 1
	s_cbranch_execnz .LBB6_951
	s_branch .LBB6_953
.LBB6_950:                              ;   in Loop: Header=BB6_876 Depth=1
	s_branch .LBB6_953
.LBB6_951:                              ;   Parent Loop BB6_876 Depth=1
                                        ; =>  This Inner Loop Header: Depth=2
	v_mov_b32_e32 v4, 1
	s_and_saveexec_b64 s[20:21], s[4:5]
	s_cbranch_execz .LBB6_948
; %bb.952:                              ;   in Loop: Header=BB6_951 Depth=2
	global_load_dword v4, v[29:30], off offset:20 glc
	s_waitcnt vmcnt(0)
	buffer_wbinvl1_vol
	v_and_b32_e32 v4, 1, v4
	s_branch .LBB6_948
.LBB6_953:                              ;   in Loop: Header=BB6_876 Depth=1
	global_load_dwordx4 v[2:5], v[2:3], off
	s_and_saveexec_b64 s[20:21], s[4:5]
	s_cbranch_execz .LBB6_875
; %bb.954:                              ;   in Loop: Header=BB6_876 Depth=1
	global_load_dwordx2 v[4:5], v28, s[6:7] offset:40
	global_load_dwordx2 v[12:13], v28, s[6:7] offset:24 glc
	global_load_dwordx2 v[14:15], v28, s[6:7]
	v_mov_b32_e32 v9, s19
	s_waitcnt vmcnt(2)
	v_add_co_u32_e32 v10, vcc, 1, v4
	v_addc_co_u32_e32 v11, vcc, 0, v5, vcc
	v_add_co_u32_e32 v8, vcc, s18, v10
	v_addc_co_u32_e32 v9, vcc, v11, v9, vcc
	v_cmp_eq_u64_e32 vcc, 0, v[8:9]
	v_cndmask_b32_e32 v9, v9, v11, vcc
	v_cndmask_b32_e32 v8, v8, v10, vcc
	v_and_b32_e32 v5, v9, v5
	v_and_b32_e32 v4, v8, v4
	v_mul_lo_u32 v5, v5, 24
	v_mul_hi_u32 v11, v4, 24
	v_mul_lo_u32 v4, v4, 24
	s_waitcnt vmcnt(1)
	v_mov_b32_e32 v10, v12
	v_add_u32_e32 v5, v11, v5
	s_waitcnt vmcnt(0)
	v_add_co_u32_e32 v4, vcc, v14, v4
	v_addc_co_u32_e32 v5, vcc, v15, v5, vcc
	global_store_dwordx2 v[4:5], v[12:13], off
	v_mov_b32_e32 v11, v13
	s_waitcnt vmcnt(0)
	global_atomic_cmpswap_x2 v[10:11], v28, v[8:11], s[6:7] offset:24 glc
	s_waitcnt vmcnt(0)
	v_cmp_ne_u64_e32 vcc, v[10:11], v[12:13]
	s_and_b64 exec, exec, vcc
	s_cbranch_execz .LBB6_875
; %bb.955:                              ;   in Loop: Header=BB6_876 Depth=1
	s_mov_b64 s[4:5], 0
.LBB6_956:                              ;   Parent Loop BB6_876 Depth=1
                                        ; =>  This Inner Loop Header: Depth=2
	s_sleep 1
	global_store_dwordx2 v[4:5], v[10:11], off
	s_waitcnt vmcnt(0)
	global_atomic_cmpswap_x2 v[12:13], v28, v[8:11], s[6:7] offset:24 glc
	s_waitcnt vmcnt(0)
	v_cmp_eq_u64_e32 vcc, v[12:13], v[10:11]
	v_mov_b32_e32 v10, v12
	s_or_b64 s[4:5], vcc, s[4:5]
	v_mov_b32_e32 v11, v13
	s_andn2_b64 exec, exec, s[4:5]
	s_cbranch_execnz .LBB6_956
	s_branch .LBB6_875
.LBB6_957:
	s_branch .LBB6_985
.LBB6_958:
                                        ; implicit-def: $vgpr2_vgpr3
	s_cbranch_execz .LBB6_985
; %bb.959:
	v_readfirstlane_b32 s4, v32
	v_mov_b32_e32 v8, 0
	v_mov_b32_e32 v9, 0
	v_cmp_eq_u32_e64 s[4:5], s4, v32
	s_and_saveexec_b64 s[12:13], s[4:5]
	s_cbranch_execz .LBB6_965
; %bb.960:
	s_waitcnt vmcnt(0)
	v_mov_b32_e32 v2, 0
	global_load_dwordx2 v[5:6], v2, s[6:7] offset:24 glc
	s_waitcnt vmcnt(0)
	buffer_wbinvl1_vol
	global_load_dwordx2 v[3:4], v2, s[6:7] offset:40
	global_load_dwordx2 v[7:8], v2, s[6:7]
	s_waitcnt vmcnt(1)
	v_and_b32_e32 v3, v3, v5
	v_and_b32_e32 v4, v4, v6
	v_mul_lo_u32 v4, v4, 24
	v_mul_hi_u32 v9, v3, 24
	v_mul_lo_u32 v3, v3, 24
	v_add_u32_e32 v4, v9, v4
	s_waitcnt vmcnt(0)
	v_add_co_u32_e32 v3, vcc, v7, v3
	v_addc_co_u32_e32 v4, vcc, v8, v4, vcc
	global_load_dwordx2 v[3:4], v[3:4], off glc
	s_waitcnt vmcnt(0)
	global_atomic_cmpswap_x2 v[8:9], v2, v[3:6], s[6:7] offset:24 glc
	s_waitcnt vmcnt(0)
	buffer_wbinvl1_vol
	v_cmp_ne_u64_e32 vcc, v[8:9], v[5:6]
	s_and_saveexec_b64 s[14:15], vcc
	s_cbranch_execz .LBB6_964
; %bb.961:
	s_mov_b64 s[16:17], 0
.LBB6_962:                              ; =>This Inner Loop Header: Depth=1
	s_sleep 1
	global_load_dwordx2 v[3:4], v2, s[6:7] offset:40
	global_load_dwordx2 v[10:11], v2, s[6:7]
	v_mov_b32_e32 v5, v8
	v_mov_b32_e32 v6, v9
	s_waitcnt vmcnt(1)
	v_and_b32_e32 v3, v3, v5
	s_waitcnt vmcnt(0)
	v_mad_u64_u32 v[7:8], s[18:19], v3, 24, v[10:11]
	v_and_b32_e32 v4, v4, v6
	v_mov_b32_e32 v3, v8
	v_mad_u64_u32 v[3:4], s[18:19], v4, 24, v[3:4]
	v_mov_b32_e32 v8, v3
	global_load_dwordx2 v[3:4], v[7:8], off glc
	s_waitcnt vmcnt(0)
	global_atomic_cmpswap_x2 v[8:9], v2, v[3:6], s[6:7] offset:24 glc
	s_waitcnt vmcnt(0)
	buffer_wbinvl1_vol
	v_cmp_eq_u64_e32 vcc, v[8:9], v[5:6]
	s_or_b64 s[16:17], vcc, s[16:17]
	s_andn2_b64 exec, exec, s[16:17]
	s_cbranch_execnz .LBB6_962
; %bb.963:
	s_or_b64 exec, exec, s[16:17]
.LBB6_964:
	s_or_b64 exec, exec, s[14:15]
.LBB6_965:
	s_or_b64 exec, exec, s[12:13]
	s_waitcnt vmcnt(0)
	v_mov_b32_e32 v2, 0
	global_load_dwordx2 v[10:11], v2, s[6:7] offset:40
	global_load_dwordx4 v[4:7], v2, s[6:7]
	v_readfirstlane_b32 s12, v8
	v_readfirstlane_b32 s13, v9
	s_mov_b64 s[14:15], exec
	s_waitcnt vmcnt(1)
	v_readfirstlane_b32 s16, v10
	v_readfirstlane_b32 s17, v11
	s_and_b64 s[16:17], s[12:13], s[16:17]
	s_mul_i32 s18, s17, 24
	s_mul_hi_u32 s19, s16, 24
	s_mul_i32 s20, s16, 24
	s_add_i32 s18, s19, s18
	v_mov_b32_e32 v3, s18
	s_waitcnt vmcnt(0)
	v_add_co_u32_e32 v8, vcc, s20, v4
	v_addc_co_u32_e32 v9, vcc, v5, v3, vcc
	s_and_saveexec_b64 s[18:19], s[4:5]
	s_cbranch_execz .LBB6_967
; %bb.966:
	v_mov_b32_e32 v10, s14
	v_mov_b32_e32 v11, s15
	;; [unrolled: 1-line block ×4, first 2 shown]
	global_store_dwordx4 v[8:9], v[10:13], off offset:8
.LBB6_967:
	s_or_b64 exec, exec, s[18:19]
	s_lshl_b64 s[14:15], s[16:17], 12
	v_mov_b32_e32 v3, s15
	v_add_co_u32_e32 v10, vcc, s14, v6
	v_addc_co_u32_e32 v11, vcc, v7, v3, vcc
	s_movk_i32 s14, 0xff1f
	v_and_or_b32 v0, v0, s14, 32
	s_mov_b32 s16, 0
	v_mov_b32_e32 v3, v2
	v_readfirstlane_b32 s14, v10
	v_readfirstlane_b32 s15, v11
	v_add_co_u32_e32 v6, vcc, v10, v31
	s_mov_b32 s17, s16
	s_mov_b32 s18, s16
	;; [unrolled: 1-line block ×3, first 2 shown]
	s_nop 0
	global_store_dwordx4 v31, v[0:3], s[14:15]
	v_addc_co_u32_e32 v7, vcc, 0, v11, vcc
	v_mov_b32_e32 v0, s16
	v_mov_b32_e32 v1, s17
	v_mov_b32_e32 v2, s18
	v_mov_b32_e32 v3, s19
	global_store_dwordx4 v31, v[0:3], s[14:15] offset:16
	global_store_dwordx4 v31, v[0:3], s[14:15] offset:32
	;; [unrolled: 1-line block ×3, first 2 shown]
	s_and_saveexec_b64 s[14:15], s[4:5]
	s_cbranch_execz .LBB6_975
; %bb.968:
	v_mov_b32_e32 v10, 0
	global_load_dwordx2 v[13:14], v10, s[6:7] offset:32 glc
	global_load_dwordx2 v[0:1], v10, s[6:7] offset:40
	v_mov_b32_e32 v11, s12
	v_mov_b32_e32 v12, s13
	s_waitcnt vmcnt(0)
	v_readfirstlane_b32 s16, v0
	v_readfirstlane_b32 s17, v1
	s_and_b64 s[16:17], s[16:17], s[12:13]
	s_mul_i32 s17, s17, 24
	s_mul_hi_u32 s18, s16, 24
	s_mul_i32 s16, s16, 24
	s_add_i32 s17, s18, s17
	v_mov_b32_e32 v0, s17
	v_add_co_u32_e32 v4, vcc, s16, v4
	v_addc_co_u32_e32 v5, vcc, v5, v0, vcc
	global_store_dwordx2 v[4:5], v[13:14], off
	s_waitcnt vmcnt(0)
	global_atomic_cmpswap_x2 v[2:3], v10, v[11:14], s[6:7] offset:32 glc
	s_waitcnt vmcnt(0)
	v_cmp_ne_u64_e32 vcc, v[2:3], v[13:14]
	s_and_saveexec_b64 s[16:17], vcc
	s_cbranch_execz .LBB6_971
; %bb.969:
	s_mov_b64 s[18:19], 0
.LBB6_970:                              ; =>This Inner Loop Header: Depth=1
	s_sleep 1
	global_store_dwordx2 v[4:5], v[2:3], off
	v_mov_b32_e32 v0, s12
	v_mov_b32_e32 v1, s13
	s_waitcnt vmcnt(0)
	global_atomic_cmpswap_x2 v[0:1], v10, v[0:3], s[6:7] offset:32 glc
	s_waitcnt vmcnt(0)
	v_cmp_eq_u64_e32 vcc, v[0:1], v[2:3]
	v_mov_b32_e32 v3, v1
	s_or_b64 s[18:19], vcc, s[18:19]
	v_mov_b32_e32 v2, v0
	s_andn2_b64 exec, exec, s[18:19]
	s_cbranch_execnz .LBB6_970
.LBB6_971:
	s_or_b64 exec, exec, s[16:17]
	v_mov_b32_e32 v3, 0
	global_load_dwordx2 v[0:1], v3, s[6:7] offset:16
	s_mov_b64 s[16:17], exec
	v_mbcnt_lo_u32_b32 v2, s16, 0
	v_mbcnt_hi_u32_b32 v2, s17, v2
	v_cmp_eq_u32_e32 vcc, 0, v2
	s_and_saveexec_b64 s[18:19], vcc
	s_cbranch_execz .LBB6_973
; %bb.972:
	s_bcnt1_i32_b64 s16, s[16:17]
	v_mov_b32_e32 v2, s16
	s_waitcnt vmcnt(0)
	global_atomic_add_x2 v[0:1], v[2:3], off offset:8
.LBB6_973:
	s_or_b64 exec, exec, s[18:19]
	s_waitcnt vmcnt(0)
	global_load_dwordx2 v[2:3], v[0:1], off offset:16
	s_waitcnt vmcnt(0)
	v_cmp_eq_u64_e32 vcc, 0, v[2:3]
	s_cbranch_vccnz .LBB6_975
; %bb.974:
	global_load_dword v0, v[0:1], off offset:24
	v_mov_b32_e32 v1, 0
	s_waitcnt vmcnt(0)
	global_store_dwordx2 v[2:3], v[0:1], off
	v_and_b32_e32 v0, 0xffffff, v0
	v_readfirstlane_b32 m0, v0
	s_sendmsg sendmsg(MSG_INTERRUPT)
.LBB6_975:
	s_or_b64 exec, exec, s[14:15]
	s_branch .LBB6_979
.LBB6_976:                              ;   in Loop: Header=BB6_979 Depth=1
	s_or_b64 exec, exec, s[14:15]
	v_readfirstlane_b32 s14, v0
	s_cmp_eq_u32 s14, 0
	s_cbranch_scc1 .LBB6_978
; %bb.977:                              ;   in Loop: Header=BB6_979 Depth=1
	s_sleep 1
	s_cbranch_execnz .LBB6_979
	s_branch .LBB6_981
.LBB6_978:
	s_branch .LBB6_981
.LBB6_979:                              ; =>This Inner Loop Header: Depth=1
	v_mov_b32_e32 v0, 1
	s_and_saveexec_b64 s[14:15], s[4:5]
	s_cbranch_execz .LBB6_976
; %bb.980:                              ;   in Loop: Header=BB6_979 Depth=1
	global_load_dword v0, v[8:9], off offset:20 glc
	s_waitcnt vmcnt(0)
	buffer_wbinvl1_vol
	v_and_b32_e32 v0, 1, v0
	s_branch .LBB6_976
.LBB6_981:
	global_load_dwordx2 v[2:3], v[6:7], off
	s_and_saveexec_b64 s[14:15], s[4:5]
	s_cbranch_execz .LBB6_984
; %bb.982:
	v_mov_b32_e32 v8, 0
	global_load_dwordx2 v[0:1], v8, s[6:7] offset:40
	global_load_dwordx2 v[9:10], v8, s[6:7] offset:24 glc
	global_load_dwordx2 v[11:12], v8, s[6:7]
	v_mov_b32_e32 v5, s13
	s_mov_b64 s[4:5], 0
	s_waitcnt vmcnt(2)
	v_add_co_u32_e32 v6, vcc, 1, v0
	v_addc_co_u32_e32 v7, vcc, 0, v1, vcc
	v_add_co_u32_e32 v4, vcc, s12, v6
	v_addc_co_u32_e32 v5, vcc, v7, v5, vcc
	v_cmp_eq_u64_e32 vcc, 0, v[4:5]
	v_cndmask_b32_e32 v5, v5, v7, vcc
	v_cndmask_b32_e32 v4, v4, v6, vcc
	v_and_b32_e32 v1, v5, v1
	v_and_b32_e32 v0, v4, v0
	v_mul_lo_u32 v1, v1, 24
	v_mul_hi_u32 v7, v0, 24
	v_mul_lo_u32 v0, v0, 24
	s_waitcnt vmcnt(1)
	v_mov_b32_e32 v6, v9
	v_add_u32_e32 v1, v7, v1
	s_waitcnt vmcnt(0)
	v_add_co_u32_e32 v0, vcc, v11, v0
	v_addc_co_u32_e32 v1, vcc, v12, v1, vcc
	global_store_dwordx2 v[0:1], v[9:10], off
	v_mov_b32_e32 v7, v10
	s_waitcnt vmcnt(0)
	global_atomic_cmpswap_x2 v[6:7], v8, v[4:7], s[6:7] offset:24 glc
	s_waitcnt vmcnt(0)
	v_cmp_ne_u64_e32 vcc, v[6:7], v[9:10]
	s_and_b64 exec, exec, vcc
	s_cbranch_execz .LBB6_984
.LBB6_983:                              ; =>This Inner Loop Header: Depth=1
	s_sleep 1
	global_store_dwordx2 v[0:1], v[6:7], off
	s_waitcnt vmcnt(0)
	global_atomic_cmpswap_x2 v[9:10], v8, v[4:7], s[6:7] offset:24 glc
	s_waitcnt vmcnt(0)
	v_cmp_eq_u64_e32 vcc, v[9:10], v[6:7]
	v_mov_b32_e32 v6, v9
	s_or_b64 s[4:5], vcc, s[4:5]
	v_mov_b32_e32 v7, v10
	s_andn2_b64 exec, exec, s[4:5]
	s_cbranch_execnz .LBB6_983
.LBB6_984:
	s_or_b64 exec, exec, s[14:15]
.LBB6_985:
	v_readfirstlane_b32 s4, v32
	s_waitcnt vmcnt(0)
	v_mov_b32_e32 v0, 0
	v_mov_b32_e32 v1, 0
	v_cmp_eq_u32_e64 s[4:5], s4, v32
	s_and_saveexec_b64 s[12:13], s[4:5]
	s_cbranch_execz .LBB6_991
; %bb.986:
	v_mov_b32_e32 v4, 0
	global_load_dwordx2 v[7:8], v4, s[6:7] offset:24 glc
	s_waitcnt vmcnt(0)
	buffer_wbinvl1_vol
	global_load_dwordx2 v[0:1], v4, s[6:7] offset:40
	global_load_dwordx2 v[5:6], v4, s[6:7]
	s_waitcnt vmcnt(1)
	v_and_b32_e32 v0, v0, v7
	v_and_b32_e32 v1, v1, v8
	v_mul_lo_u32 v1, v1, 24
	v_mul_hi_u32 v9, v0, 24
	v_mul_lo_u32 v0, v0, 24
	v_add_u32_e32 v1, v9, v1
	s_waitcnt vmcnt(0)
	v_add_co_u32_e32 v0, vcc, v5, v0
	v_addc_co_u32_e32 v1, vcc, v6, v1, vcc
	global_load_dwordx2 v[5:6], v[0:1], off glc
	s_waitcnt vmcnt(0)
	global_atomic_cmpswap_x2 v[0:1], v4, v[5:8], s[6:7] offset:24 glc
	s_waitcnt vmcnt(0)
	buffer_wbinvl1_vol
	v_cmp_ne_u64_e32 vcc, v[0:1], v[7:8]
	s_and_saveexec_b64 s[14:15], vcc
	s_cbranch_execz .LBB6_990
; %bb.987:
	s_mov_b64 s[16:17], 0
.LBB6_988:                              ; =>This Inner Loop Header: Depth=1
	s_sleep 1
	global_load_dwordx2 v[5:6], v4, s[6:7] offset:40
	global_load_dwordx2 v[9:10], v4, s[6:7]
	v_mov_b32_e32 v8, v1
	v_mov_b32_e32 v7, v0
	s_waitcnt vmcnt(1)
	v_and_b32_e32 v0, v5, v7
	s_waitcnt vmcnt(0)
	v_mad_u64_u32 v[0:1], s[18:19], v0, 24, v[9:10]
	v_and_b32_e32 v5, v6, v8
	v_mad_u64_u32 v[5:6], s[18:19], v5, 24, v[1:2]
	v_mov_b32_e32 v1, v5
	global_load_dwordx2 v[5:6], v[0:1], off glc
	s_waitcnt vmcnt(0)
	global_atomic_cmpswap_x2 v[0:1], v4, v[5:8], s[6:7] offset:24 glc
	s_waitcnt vmcnt(0)
	buffer_wbinvl1_vol
	v_cmp_eq_u64_e32 vcc, v[0:1], v[7:8]
	s_or_b64 s[16:17], vcc, s[16:17]
	s_andn2_b64 exec, exec, s[16:17]
	s_cbranch_execnz .LBB6_988
; %bb.989:
	s_or_b64 exec, exec, s[16:17]
.LBB6_990:
	s_or_b64 exec, exec, s[14:15]
.LBB6_991:
	s_or_b64 exec, exec, s[12:13]
	v_mov_b32_e32 v5, 0
	global_load_dwordx2 v[10:11], v5, s[6:7] offset:40
	global_load_dwordx4 v[6:9], v5, s[6:7]
	v_readfirstlane_b32 s12, v0
	v_readfirstlane_b32 s13, v1
	s_mov_b64 s[14:15], exec
	s_waitcnt vmcnt(1)
	v_readfirstlane_b32 s16, v10
	v_readfirstlane_b32 s17, v11
	s_and_b64 s[16:17], s[12:13], s[16:17]
	s_mul_i32 s18, s17, 24
	s_mul_hi_u32 s19, s16, 24
	s_mul_i32 s20, s16, 24
	s_add_i32 s18, s19, s18
	v_mov_b32_e32 v0, s18
	s_waitcnt vmcnt(0)
	v_add_co_u32_e32 v10, vcc, s20, v6
	v_addc_co_u32_e32 v11, vcc, v7, v0, vcc
	s_and_saveexec_b64 s[18:19], s[4:5]
	s_cbranch_execz .LBB6_993
; %bb.992:
	v_mov_b32_e32 v12, s14
	v_mov_b32_e32 v13, s15
	;; [unrolled: 1-line block ×4, first 2 shown]
	global_store_dwordx4 v[10:11], v[12:15], off offset:8
.LBB6_993:
	s_or_b64 exec, exec, s[18:19]
	s_lshl_b64 s[14:15], s[16:17], 12
	v_mov_b32_e32 v0, s15
	v_add_co_u32_e32 v1, vcc, s14, v8
	v_addc_co_u32_e32 v0, vcc, v9, v0, vcc
	s_movk_i32 s14, 0xff1d
	v_and_or_b32 v2, v2, s14, 34
	s_mov_b32 s16, 0
	v_mov_b32_e32 v4, 0x3eb
	v_readfirstlane_b32 s14, v1
	v_readfirstlane_b32 s15, v0
	s_mov_b32 s17, s16
	s_mov_b32 s18, s16
	;; [unrolled: 1-line block ×3, first 2 shown]
	s_nop 1
	global_store_dwordx4 v31, v[2:5], s[14:15]
	v_mov_b32_e32 v0, s16
	v_mov_b32_e32 v1, s17
	;; [unrolled: 1-line block ×4, first 2 shown]
	global_store_dwordx4 v31, v[0:3], s[14:15] offset:16
	global_store_dwordx4 v31, v[0:3], s[14:15] offset:32
	;; [unrolled: 1-line block ×3, first 2 shown]
	s_and_saveexec_b64 s[14:15], s[4:5]
	s_cbranch_execz .LBB6_1001
; %bb.994:
	v_mov_b32_e32 v8, 0
	global_load_dwordx2 v[14:15], v8, s[6:7] offset:32 glc
	global_load_dwordx2 v[0:1], v8, s[6:7] offset:40
	v_mov_b32_e32 v12, s12
	v_mov_b32_e32 v13, s13
	s_waitcnt vmcnt(0)
	v_readfirstlane_b32 s16, v0
	v_readfirstlane_b32 s17, v1
	s_and_b64 s[16:17], s[16:17], s[12:13]
	s_mul_i32 s17, s17, 24
	s_mul_hi_u32 s18, s16, 24
	s_mul_i32 s16, s16, 24
	s_add_i32 s17, s18, s17
	v_mov_b32_e32 v0, s17
	v_add_co_u32_e32 v4, vcc, s16, v6
	v_addc_co_u32_e32 v5, vcc, v7, v0, vcc
	global_store_dwordx2 v[4:5], v[14:15], off
	s_waitcnt vmcnt(0)
	global_atomic_cmpswap_x2 v[2:3], v8, v[12:15], s[6:7] offset:32 glc
	s_waitcnt vmcnt(0)
	v_cmp_ne_u64_e32 vcc, v[2:3], v[14:15]
	s_and_saveexec_b64 s[16:17], vcc
	s_cbranch_execz .LBB6_997
; %bb.995:
	s_mov_b64 s[18:19], 0
.LBB6_996:                              ; =>This Inner Loop Header: Depth=1
	s_sleep 1
	global_store_dwordx2 v[4:5], v[2:3], off
	v_mov_b32_e32 v0, s12
	v_mov_b32_e32 v1, s13
	s_waitcnt vmcnt(0)
	global_atomic_cmpswap_x2 v[0:1], v8, v[0:3], s[6:7] offset:32 glc
	s_waitcnt vmcnt(0)
	v_cmp_eq_u64_e32 vcc, v[0:1], v[2:3]
	v_mov_b32_e32 v3, v1
	s_or_b64 s[18:19], vcc, s[18:19]
	v_mov_b32_e32 v2, v0
	s_andn2_b64 exec, exec, s[18:19]
	s_cbranch_execnz .LBB6_996
.LBB6_997:
	s_or_b64 exec, exec, s[16:17]
	v_mov_b32_e32 v3, 0
	global_load_dwordx2 v[0:1], v3, s[6:7] offset:16
	s_mov_b64 s[16:17], exec
	v_mbcnt_lo_u32_b32 v2, s16, 0
	v_mbcnt_hi_u32_b32 v2, s17, v2
	v_cmp_eq_u32_e32 vcc, 0, v2
	s_and_saveexec_b64 s[18:19], vcc
	s_cbranch_execz .LBB6_999
; %bb.998:
	s_bcnt1_i32_b64 s16, s[16:17]
	v_mov_b32_e32 v2, s16
	s_waitcnt vmcnt(0)
	global_atomic_add_x2 v[0:1], v[2:3], off offset:8
.LBB6_999:
	s_or_b64 exec, exec, s[18:19]
	s_waitcnt vmcnt(0)
	global_load_dwordx2 v[2:3], v[0:1], off offset:16
	s_waitcnt vmcnt(0)
	v_cmp_eq_u64_e32 vcc, 0, v[2:3]
	s_cbranch_vccnz .LBB6_1001
; %bb.1000:
	global_load_dword v0, v[0:1], off offset:24
	v_mov_b32_e32 v1, 0
	s_waitcnt vmcnt(0)
	global_store_dwordx2 v[2:3], v[0:1], off
	v_and_b32_e32 v0, 0xffffff, v0
	v_readfirstlane_b32 m0, v0
	s_sendmsg sendmsg(MSG_INTERRUPT)
.LBB6_1001:
	s_or_b64 exec, exec, s[14:15]
	s_branch .LBB6_1005
.LBB6_1002:                             ;   in Loop: Header=BB6_1005 Depth=1
	s_or_b64 exec, exec, s[14:15]
	v_readfirstlane_b32 s14, v0
	s_cmp_eq_u32 s14, 0
	s_cbranch_scc1 .LBB6_1004
; %bb.1003:                             ;   in Loop: Header=BB6_1005 Depth=1
	s_sleep 1
	s_cbranch_execnz .LBB6_1005
	s_branch .LBB6_1007
.LBB6_1004:
	s_branch .LBB6_1007
.LBB6_1005:                             ; =>This Inner Loop Header: Depth=1
	v_mov_b32_e32 v0, 1
	s_and_saveexec_b64 s[14:15], s[4:5]
	s_cbranch_execz .LBB6_1002
; %bb.1006:                             ;   in Loop: Header=BB6_1005 Depth=1
	global_load_dword v0, v[10:11], off offset:20 glc
	s_waitcnt vmcnt(0)
	buffer_wbinvl1_vol
	v_and_b32_e32 v0, 1, v0
	s_branch .LBB6_1002
.LBB6_1007:
	s_and_saveexec_b64 s[14:15], s[4:5]
	s_cbranch_execz .LBB6_1010
; %bb.1008:
	v_mov_b32_e32 v6, 0
	global_load_dwordx2 v[2:3], v6, s[6:7] offset:40
	global_load_dwordx2 v[7:8], v6, s[6:7] offset:24 glc
	global_load_dwordx2 v[4:5], v6, s[6:7]
	v_mov_b32_e32 v1, s13
	s_mov_b64 s[4:5], 0
	s_waitcnt vmcnt(2)
	v_add_co_u32_e32 v9, vcc, 1, v2
	v_addc_co_u32_e32 v10, vcc, 0, v3, vcc
	v_add_co_u32_e32 v0, vcc, s12, v9
	v_addc_co_u32_e32 v1, vcc, v10, v1, vcc
	v_cmp_eq_u64_e32 vcc, 0, v[0:1]
	v_cndmask_b32_e32 v1, v1, v10, vcc
	v_cndmask_b32_e32 v0, v0, v9, vcc
	v_and_b32_e32 v3, v1, v3
	v_and_b32_e32 v2, v0, v2
	v_mul_lo_u32 v3, v3, 24
	v_mul_hi_u32 v9, v2, 24
	v_mul_lo_u32 v10, v2, 24
	s_waitcnt vmcnt(1)
	v_mov_b32_e32 v2, v7
	v_add_u32_e32 v3, v9, v3
	s_waitcnt vmcnt(0)
	v_add_co_u32_e32 v4, vcc, v4, v10
	v_addc_co_u32_e32 v5, vcc, v5, v3, vcc
	global_store_dwordx2 v[4:5], v[7:8], off
	v_mov_b32_e32 v3, v8
	s_waitcnt vmcnt(0)
	global_atomic_cmpswap_x2 v[2:3], v6, v[0:3], s[6:7] offset:24 glc
	s_waitcnt vmcnt(0)
	v_cmp_ne_u64_e32 vcc, v[2:3], v[7:8]
	s_and_b64 exec, exec, vcc
	s_cbranch_execz .LBB6_1010
.LBB6_1009:                             ; =>This Inner Loop Header: Depth=1
	s_sleep 1
	global_store_dwordx2 v[4:5], v[2:3], off
	s_waitcnt vmcnt(0)
	global_atomic_cmpswap_x2 v[7:8], v6, v[0:3], s[6:7] offset:24 glc
	s_waitcnt vmcnt(0)
	v_cmp_eq_u64_e32 vcc, v[7:8], v[2:3]
	v_mov_b32_e32 v2, v7
	s_or_b64 s[4:5], vcc, s[4:5]
	v_mov_b32_e32 v3, v8
	s_andn2_b64 exec, exec, s[4:5]
	s_cbranch_execnz .LBB6_1009
.LBB6_1010:
	s_or_b64 exec, exec, s[14:15]
	v_readfirstlane_b32 s4, v32
	v_mov_b32_e32 v5, 0
	v_mov_b32_e32 v6, 0
	v_cmp_eq_u32_e64 s[4:5], s4, v32
	s_and_saveexec_b64 s[12:13], s[4:5]
	s_cbranch_execz .LBB6_1016
; %bb.1011:
	v_mov_b32_e32 v0, 0
	global_load_dwordx2 v[3:4], v0, s[6:7] offset:24 glc
	s_waitcnt vmcnt(0)
	buffer_wbinvl1_vol
	global_load_dwordx2 v[1:2], v0, s[6:7] offset:40
	global_load_dwordx2 v[5:6], v0, s[6:7]
	s_waitcnt vmcnt(1)
	v_and_b32_e32 v1, v1, v3
	v_and_b32_e32 v2, v2, v4
	v_mul_lo_u32 v2, v2, 24
	v_mul_hi_u32 v7, v1, 24
	v_mul_lo_u32 v1, v1, 24
	v_add_u32_e32 v2, v7, v2
	s_waitcnt vmcnt(0)
	v_add_co_u32_e32 v1, vcc, v5, v1
	v_addc_co_u32_e32 v2, vcc, v6, v2, vcc
	global_load_dwordx2 v[1:2], v[1:2], off glc
	s_waitcnt vmcnt(0)
	global_atomic_cmpswap_x2 v[5:6], v0, v[1:4], s[6:7] offset:24 glc
	s_waitcnt vmcnt(0)
	buffer_wbinvl1_vol
	v_cmp_ne_u64_e32 vcc, v[5:6], v[3:4]
	s_and_saveexec_b64 s[14:15], vcc
	s_cbranch_execz .LBB6_1015
; %bb.1012:
	s_mov_b64 s[16:17], 0
.LBB6_1013:                             ; =>This Inner Loop Header: Depth=1
	s_sleep 1
	global_load_dwordx2 v[1:2], v0, s[6:7] offset:40
	global_load_dwordx2 v[7:8], v0, s[6:7]
	v_mov_b32_e32 v3, v5
	v_mov_b32_e32 v4, v6
	s_waitcnt vmcnt(1)
	v_and_b32_e32 v1, v1, v3
	s_waitcnt vmcnt(0)
	v_mad_u64_u32 v[5:6], s[18:19], v1, 24, v[7:8]
	v_and_b32_e32 v2, v2, v4
	v_mov_b32_e32 v1, v6
	v_mad_u64_u32 v[1:2], s[18:19], v2, 24, v[1:2]
	v_mov_b32_e32 v6, v1
	global_load_dwordx2 v[1:2], v[5:6], off glc
	s_waitcnt vmcnt(0)
	global_atomic_cmpswap_x2 v[5:6], v0, v[1:4], s[6:7] offset:24 glc
	s_waitcnt vmcnt(0)
	buffer_wbinvl1_vol
	v_cmp_eq_u64_e32 vcc, v[5:6], v[3:4]
	s_or_b64 s[16:17], vcc, s[16:17]
	s_andn2_b64 exec, exec, s[16:17]
	s_cbranch_execnz .LBB6_1013
; %bb.1014:
	s_or_b64 exec, exec, s[16:17]
.LBB6_1015:
	s_or_b64 exec, exec, s[14:15]
.LBB6_1016:
	s_or_b64 exec, exec, s[12:13]
	v_mov_b32_e32 v4, 0
	global_load_dwordx2 v[7:8], v4, s[6:7] offset:40
	global_load_dwordx4 v[0:3], v4, s[6:7]
	v_readfirstlane_b32 s12, v5
	v_readfirstlane_b32 s13, v6
	s_mov_b64 s[14:15], exec
	s_waitcnt vmcnt(1)
	v_readfirstlane_b32 s16, v7
	v_readfirstlane_b32 s17, v8
	s_and_b64 s[16:17], s[12:13], s[16:17]
	s_mul_i32 s18, s17, 24
	s_mul_hi_u32 s19, s16, 24
	s_mul_i32 s20, s16, 24
	s_add_i32 s18, s19, s18
	v_mov_b32_e32 v5, s18
	s_waitcnt vmcnt(0)
	v_add_co_u32_e32 v7, vcc, s20, v0
	v_addc_co_u32_e32 v8, vcc, v1, v5, vcc
	s_and_saveexec_b64 s[18:19], s[4:5]
	s_cbranch_execz .LBB6_1018
; %bb.1017:
	v_mov_b32_e32 v9, s14
	v_mov_b32_e32 v10, s15
	v_mov_b32_e32 v11, 2
	v_mov_b32_e32 v12, 1
	global_store_dwordx4 v[7:8], v[9:12], off offset:8
.LBB6_1018:
	s_or_b64 exec, exec, s[18:19]
	s_lshl_b64 s[14:15], s[16:17], 12
	v_mov_b32_e32 v5, s15
	v_add_co_u32_e32 v2, vcc, s14, v2
	v_addc_co_u32_e32 v11, vcc, v3, v5, vcc
	s_mov_b32 s16, 0
	v_mov_b32_e32 v3, 33
	v_mov_b32_e32 v5, v4
	;; [unrolled: 1-line block ×3, first 2 shown]
	v_readfirstlane_b32 s14, v2
	v_readfirstlane_b32 s15, v11
	v_add_co_u32_e32 v9, vcc, v2, v31
	s_mov_b32 s17, s16
	s_mov_b32 s18, s16
	s_mov_b32 s19, s16
	s_nop 0
	global_store_dwordx4 v31, v[3:6], s[14:15]
	v_mov_b32_e32 v2, s16
	v_addc_co_u32_e32 v10, vcc, 0, v11, vcc
	v_mov_b32_e32 v3, s17
	v_mov_b32_e32 v4, s18
	v_mov_b32_e32 v5, s19
	global_store_dwordx4 v31, v[2:5], s[14:15] offset:16
	global_store_dwordx4 v31, v[2:5], s[14:15] offset:32
	;; [unrolled: 1-line block ×3, first 2 shown]
	s_and_saveexec_b64 s[14:15], s[4:5]
	s_cbranch_execz .LBB6_1026
; %bb.1019:
	v_mov_b32_e32 v6, 0
	global_load_dwordx2 v[13:14], v6, s[6:7] offset:32 glc
	global_load_dwordx2 v[2:3], v6, s[6:7] offset:40
	v_mov_b32_e32 v11, s12
	v_mov_b32_e32 v12, s13
	s_waitcnt vmcnt(0)
	v_readfirstlane_b32 s16, v2
	v_readfirstlane_b32 s17, v3
	s_and_b64 s[16:17], s[16:17], s[12:13]
	s_mul_i32 s17, s17, 24
	s_mul_hi_u32 s18, s16, 24
	s_mul_i32 s16, s16, 24
	s_add_i32 s17, s18, s17
	v_mov_b32_e32 v2, s17
	v_add_co_u32_e32 v4, vcc, s16, v0
	v_addc_co_u32_e32 v5, vcc, v1, v2, vcc
	global_store_dwordx2 v[4:5], v[13:14], off
	s_waitcnt vmcnt(0)
	global_atomic_cmpswap_x2 v[2:3], v6, v[11:14], s[6:7] offset:32 glc
	s_waitcnt vmcnt(0)
	v_cmp_ne_u64_e32 vcc, v[2:3], v[13:14]
	s_and_saveexec_b64 s[16:17], vcc
	s_cbranch_execz .LBB6_1022
; %bb.1020:
	s_mov_b64 s[18:19], 0
.LBB6_1021:                             ; =>This Inner Loop Header: Depth=1
	s_sleep 1
	global_store_dwordx2 v[4:5], v[2:3], off
	v_mov_b32_e32 v0, s12
	v_mov_b32_e32 v1, s13
	s_waitcnt vmcnt(0)
	global_atomic_cmpswap_x2 v[0:1], v6, v[0:3], s[6:7] offset:32 glc
	s_waitcnt vmcnt(0)
	v_cmp_eq_u64_e32 vcc, v[0:1], v[2:3]
	v_mov_b32_e32 v3, v1
	s_or_b64 s[18:19], vcc, s[18:19]
	v_mov_b32_e32 v2, v0
	s_andn2_b64 exec, exec, s[18:19]
	s_cbranch_execnz .LBB6_1021
.LBB6_1022:
	s_or_b64 exec, exec, s[16:17]
	v_mov_b32_e32 v3, 0
	global_load_dwordx2 v[0:1], v3, s[6:7] offset:16
	s_mov_b64 s[16:17], exec
	v_mbcnt_lo_u32_b32 v2, s16, 0
	v_mbcnt_hi_u32_b32 v2, s17, v2
	v_cmp_eq_u32_e32 vcc, 0, v2
	s_and_saveexec_b64 s[18:19], vcc
	s_cbranch_execz .LBB6_1024
; %bb.1023:
	s_bcnt1_i32_b64 s16, s[16:17]
	v_mov_b32_e32 v2, s16
	s_waitcnt vmcnt(0)
	global_atomic_add_x2 v[0:1], v[2:3], off offset:8
.LBB6_1024:
	s_or_b64 exec, exec, s[18:19]
	s_waitcnt vmcnt(0)
	global_load_dwordx2 v[2:3], v[0:1], off offset:16
	s_waitcnt vmcnt(0)
	v_cmp_eq_u64_e32 vcc, 0, v[2:3]
	s_cbranch_vccnz .LBB6_1026
; %bb.1025:
	global_load_dword v0, v[0:1], off offset:24
	v_mov_b32_e32 v1, 0
	s_waitcnt vmcnt(0)
	global_store_dwordx2 v[2:3], v[0:1], off
	v_and_b32_e32 v0, 0xffffff, v0
	v_readfirstlane_b32 m0, v0
	s_sendmsg sendmsg(MSG_INTERRUPT)
.LBB6_1026:
	s_or_b64 exec, exec, s[14:15]
	s_branch .LBB6_1030
.LBB6_1027:                             ;   in Loop: Header=BB6_1030 Depth=1
	s_or_b64 exec, exec, s[14:15]
	v_readfirstlane_b32 s14, v0
	s_cmp_eq_u32 s14, 0
	s_cbranch_scc1 .LBB6_1029
; %bb.1028:                             ;   in Loop: Header=BB6_1030 Depth=1
	s_sleep 1
	s_cbranch_execnz .LBB6_1030
	s_branch .LBB6_1032
.LBB6_1029:
	s_branch .LBB6_1032
.LBB6_1030:                             ; =>This Inner Loop Header: Depth=1
	v_mov_b32_e32 v0, 1
	s_and_saveexec_b64 s[14:15], s[4:5]
	s_cbranch_execz .LBB6_1027
; %bb.1031:                             ;   in Loop: Header=BB6_1030 Depth=1
	global_load_dword v0, v[7:8], off offset:20 glc
	s_waitcnt vmcnt(0)
	buffer_wbinvl1_vol
	v_and_b32_e32 v0, 1, v0
	s_branch .LBB6_1027
.LBB6_1032:
	global_load_dwordx2 v[0:1], v[9:10], off
	s_and_saveexec_b64 s[14:15], s[4:5]
	s_cbranch_execz .LBB6_1035
; %bb.1033:
	v_mov_b32_e32 v8, 0
	global_load_dwordx2 v[4:5], v8, s[6:7] offset:40
	global_load_dwordx2 v[9:10], v8, s[6:7] offset:24 glc
	global_load_dwordx2 v[6:7], v8, s[6:7]
	v_mov_b32_e32 v3, s13
	s_mov_b64 s[4:5], 0
	s_waitcnt vmcnt(2)
	v_add_co_u32_e32 v11, vcc, 1, v4
	v_addc_co_u32_e32 v12, vcc, 0, v5, vcc
	v_add_co_u32_e32 v2, vcc, s12, v11
	v_addc_co_u32_e32 v3, vcc, v12, v3, vcc
	v_cmp_eq_u64_e32 vcc, 0, v[2:3]
	v_cndmask_b32_e32 v3, v3, v12, vcc
	v_cndmask_b32_e32 v2, v2, v11, vcc
	v_and_b32_e32 v5, v3, v5
	v_and_b32_e32 v4, v2, v4
	v_mul_lo_u32 v5, v5, 24
	v_mul_hi_u32 v11, v4, 24
	v_mul_lo_u32 v12, v4, 24
	s_waitcnt vmcnt(1)
	v_mov_b32_e32 v4, v9
	v_add_u32_e32 v5, v11, v5
	s_waitcnt vmcnt(0)
	v_add_co_u32_e32 v6, vcc, v6, v12
	v_addc_co_u32_e32 v7, vcc, v7, v5, vcc
	global_store_dwordx2 v[6:7], v[9:10], off
	v_mov_b32_e32 v5, v10
	s_waitcnt vmcnt(0)
	global_atomic_cmpswap_x2 v[4:5], v8, v[2:5], s[6:7] offset:24 glc
	s_waitcnt vmcnt(0)
	v_cmp_ne_u64_e32 vcc, v[4:5], v[9:10]
	s_and_b64 exec, exec, vcc
	s_cbranch_execz .LBB6_1035
.LBB6_1034:                             ; =>This Inner Loop Header: Depth=1
	s_sleep 1
	global_store_dwordx2 v[6:7], v[4:5], off
	s_waitcnt vmcnt(0)
	global_atomic_cmpswap_x2 v[9:10], v8, v[2:5], s[6:7] offset:24 glc
	s_waitcnt vmcnt(0)
	v_cmp_eq_u64_e32 vcc, v[9:10], v[4:5]
	v_mov_b32_e32 v4, v9
	s_or_b64 s[4:5], vcc, s[4:5]
	v_mov_b32_e32 v5, v10
	s_andn2_b64 exec, exec, s[4:5]
	s_cbranch_execnz .LBB6_1034
.LBB6_1035:
	s_or_b64 exec, exec, s[14:15]
	s_and_b64 vcc, exec, s[10:11]
	s_cbranch_vccz .LBB6_1120
; %bb.1036:
	s_waitcnt vmcnt(0)
	v_and_b32_e32 v33, 2, v0
	v_mov_b32_e32 v28, 0
	v_and_b32_e32 v2, -3, v0
	v_mov_b32_e32 v3, v1
	s_mov_b64 s[14:15], 3
	v_mov_b32_e32 v6, 2
	v_mov_b32_e32 v7, 1
	s_getpc_b64 s[12:13]
	s_add_u32 s12, s12, .str.6@rel32@lo+4
	s_addc_u32 s13, s13, .str.6@rel32@hi+12
	s_branch .LBB6_1038
.LBB6_1037:                             ;   in Loop: Header=BB6_1038 Depth=1
	s_or_b64 exec, exec, s[20:21]
	s_sub_u32 s14, s14, s16
	s_subb_u32 s15, s15, s17
	s_add_u32 s12, s12, s16
	s_addc_u32 s13, s13, s17
	s_cmp_lg_u64 s[14:15], 0
	s_cbranch_scc0 .LBB6_1119
.LBB6_1038:                             ; =>This Loop Header: Depth=1
                                        ;     Child Loop BB6_1041 Depth 2
                                        ;     Child Loop BB6_1048 Depth 2
	;; [unrolled: 1-line block ×11, first 2 shown]
	v_cmp_lt_u64_e64 s[4:5], s[14:15], 56
	v_cmp_gt_u64_e64 s[18:19], s[14:15], 7
	s_and_b64 s[4:5], s[4:5], exec
	s_cselect_b32 s17, s15, 0
	s_cselect_b32 s16, s14, 56
	s_and_b64 vcc, exec, s[18:19]
	s_cbranch_vccnz .LBB6_1043
; %bb.1039:                             ;   in Loop: Header=BB6_1038 Depth=1
	v_mov_b32_e32 v10, 0
	s_cmp_eq_u64 s[14:15], 0
	v_mov_b32_e32 v11, 0
	s_mov_b64 s[4:5], 0
	s_cbranch_scc1 .LBB6_1042
; %bb.1040:                             ;   in Loop: Header=BB6_1038 Depth=1
	v_mov_b32_e32 v10, 0
	s_lshl_b64 s[18:19], s[16:17], 3
	s_mov_b64 s[20:21], 0
	v_mov_b32_e32 v11, 0
	s_mov_b64 s[22:23], s[12:13]
.LBB6_1041:                             ;   Parent Loop BB6_1038 Depth=1
                                        ; =>  This Inner Loop Header: Depth=2
	global_load_ubyte v4, v28, s[22:23]
	s_waitcnt vmcnt(0)
	v_and_b32_e32 v27, 0xffff, v4
	v_lshlrev_b64 v[4:5], s20, v[27:28]
	s_add_u32 s20, s20, 8
	s_addc_u32 s21, s21, 0
	s_add_u32 s22, s22, 1
	s_addc_u32 s23, s23, 0
	v_or_b32_e32 v10, v4, v10
	s_cmp_lg_u32 s18, s20
	v_or_b32_e32 v11, v5, v11
	s_cbranch_scc1 .LBB6_1041
.LBB6_1042:                             ;   in Loop: Header=BB6_1038 Depth=1
	s_mov_b32 s22, 0
	s_andn2_b64 vcc, exec, s[4:5]
	s_mov_b64 s[4:5], s[12:13]
	s_cbranch_vccz .LBB6_1044
	s_branch .LBB6_1045
.LBB6_1043:                             ;   in Loop: Header=BB6_1038 Depth=1
                                        ; implicit-def: $vgpr10_vgpr11
                                        ; implicit-def: $sgpr22
	s_mov_b64 s[4:5], s[12:13]
.LBB6_1044:                             ;   in Loop: Header=BB6_1038 Depth=1
	global_load_dwordx2 v[10:11], v28, s[12:13]
	s_add_i32 s22, s16, -8
	s_add_u32 s4, s12, 8
	s_addc_u32 s5, s13, 0
.LBB6_1045:                             ;   in Loop: Header=BB6_1038 Depth=1
	s_cmp_gt_u32 s22, 7
	s_cbranch_scc1 .LBB6_1049
; %bb.1046:                             ;   in Loop: Header=BB6_1038 Depth=1
	s_cmp_eq_u32 s22, 0
	s_cbranch_scc1 .LBB6_1050
; %bb.1047:                             ;   in Loop: Header=BB6_1038 Depth=1
	v_mov_b32_e32 v12, 0
	s_mov_b64 s[18:19], 0
	v_mov_b32_e32 v13, 0
	s_mov_b64 s[20:21], 0
.LBB6_1048:                             ;   Parent Loop BB6_1038 Depth=1
                                        ; =>  This Inner Loop Header: Depth=2
	s_add_u32 s24, s4, s20
	s_addc_u32 s25, s5, s21
	global_load_ubyte v4, v28, s[24:25]
	s_add_u32 s20, s20, 1
	s_addc_u32 s21, s21, 0
	s_waitcnt vmcnt(0)
	v_and_b32_e32 v27, 0xffff, v4
	v_lshlrev_b64 v[4:5], s18, v[27:28]
	s_add_u32 s18, s18, 8
	s_addc_u32 s19, s19, 0
	v_or_b32_e32 v12, v4, v12
	s_cmp_lg_u32 s22, s20
	v_or_b32_e32 v13, v5, v13
	s_cbranch_scc1 .LBB6_1048
	s_branch .LBB6_1051
.LBB6_1049:                             ;   in Loop: Header=BB6_1038 Depth=1
                                        ; implicit-def: $vgpr12_vgpr13
                                        ; implicit-def: $sgpr23
	s_branch .LBB6_1052
.LBB6_1050:                             ;   in Loop: Header=BB6_1038 Depth=1
	v_mov_b32_e32 v12, 0
	v_mov_b32_e32 v13, 0
.LBB6_1051:                             ;   in Loop: Header=BB6_1038 Depth=1
	s_mov_b32 s23, 0
	s_cbranch_execnz .LBB6_1053
.LBB6_1052:                             ;   in Loop: Header=BB6_1038 Depth=1
	global_load_dwordx2 v[12:13], v28, s[4:5]
	s_add_i32 s23, s22, -8
	s_add_u32 s4, s4, 8
	s_addc_u32 s5, s5, 0
.LBB6_1053:                             ;   in Loop: Header=BB6_1038 Depth=1
	s_cmp_gt_u32 s23, 7
	s_cbranch_scc1 .LBB6_1057
; %bb.1054:                             ;   in Loop: Header=BB6_1038 Depth=1
	s_cmp_eq_u32 s23, 0
	s_cbranch_scc1 .LBB6_1058
; %bb.1055:                             ;   in Loop: Header=BB6_1038 Depth=1
	v_mov_b32_e32 v14, 0
	s_mov_b64 s[18:19], 0
	v_mov_b32_e32 v15, 0
	s_mov_b64 s[20:21], 0
.LBB6_1056:                             ;   Parent Loop BB6_1038 Depth=1
                                        ; =>  This Inner Loop Header: Depth=2
	s_add_u32 s24, s4, s20
	s_addc_u32 s25, s5, s21
	global_load_ubyte v4, v28, s[24:25]
	s_add_u32 s20, s20, 1
	s_addc_u32 s21, s21, 0
	s_waitcnt vmcnt(0)
	v_and_b32_e32 v27, 0xffff, v4
	v_lshlrev_b64 v[4:5], s18, v[27:28]
	s_add_u32 s18, s18, 8
	s_addc_u32 s19, s19, 0
	v_or_b32_e32 v14, v4, v14
	s_cmp_lg_u32 s23, s20
	v_or_b32_e32 v15, v5, v15
	s_cbranch_scc1 .LBB6_1056
	s_branch .LBB6_1059
.LBB6_1057:                             ;   in Loop: Header=BB6_1038 Depth=1
                                        ; implicit-def: $sgpr22
	s_branch .LBB6_1060
.LBB6_1058:                             ;   in Loop: Header=BB6_1038 Depth=1
	v_mov_b32_e32 v14, 0
	v_mov_b32_e32 v15, 0
.LBB6_1059:                             ;   in Loop: Header=BB6_1038 Depth=1
	s_mov_b32 s22, 0
	s_cbranch_execnz .LBB6_1061
.LBB6_1060:                             ;   in Loop: Header=BB6_1038 Depth=1
	global_load_dwordx2 v[14:15], v28, s[4:5]
	s_add_i32 s22, s23, -8
	s_add_u32 s4, s4, 8
	s_addc_u32 s5, s5, 0
.LBB6_1061:                             ;   in Loop: Header=BB6_1038 Depth=1
	s_cmp_gt_u32 s22, 7
	s_cbranch_scc1 .LBB6_1065
; %bb.1062:                             ;   in Loop: Header=BB6_1038 Depth=1
	s_cmp_eq_u32 s22, 0
	s_cbranch_scc1 .LBB6_1066
; %bb.1063:                             ;   in Loop: Header=BB6_1038 Depth=1
	v_mov_b32_e32 v16, 0
	s_mov_b64 s[18:19], 0
	v_mov_b32_e32 v17, 0
	s_mov_b64 s[20:21], 0
.LBB6_1064:                             ;   Parent Loop BB6_1038 Depth=1
                                        ; =>  This Inner Loop Header: Depth=2
	s_add_u32 s24, s4, s20
	s_addc_u32 s25, s5, s21
	global_load_ubyte v4, v28, s[24:25]
	s_add_u32 s20, s20, 1
	s_addc_u32 s21, s21, 0
	s_waitcnt vmcnt(0)
	v_and_b32_e32 v27, 0xffff, v4
	v_lshlrev_b64 v[4:5], s18, v[27:28]
	s_add_u32 s18, s18, 8
	s_addc_u32 s19, s19, 0
	v_or_b32_e32 v16, v4, v16
	s_cmp_lg_u32 s22, s20
	v_or_b32_e32 v17, v5, v17
	s_cbranch_scc1 .LBB6_1064
	s_branch .LBB6_1067
.LBB6_1065:                             ;   in Loop: Header=BB6_1038 Depth=1
                                        ; implicit-def: $vgpr16_vgpr17
                                        ; implicit-def: $sgpr23
	s_branch .LBB6_1068
.LBB6_1066:                             ;   in Loop: Header=BB6_1038 Depth=1
	v_mov_b32_e32 v16, 0
	v_mov_b32_e32 v17, 0
.LBB6_1067:                             ;   in Loop: Header=BB6_1038 Depth=1
	s_mov_b32 s23, 0
	s_cbranch_execnz .LBB6_1069
.LBB6_1068:                             ;   in Loop: Header=BB6_1038 Depth=1
	global_load_dwordx2 v[16:17], v28, s[4:5]
	s_add_i32 s23, s22, -8
	s_add_u32 s4, s4, 8
	s_addc_u32 s5, s5, 0
.LBB6_1069:                             ;   in Loop: Header=BB6_1038 Depth=1
	s_cmp_gt_u32 s23, 7
	s_cbranch_scc1 .LBB6_1073
; %bb.1070:                             ;   in Loop: Header=BB6_1038 Depth=1
	s_cmp_eq_u32 s23, 0
	s_cbranch_scc1 .LBB6_1074
; %bb.1071:                             ;   in Loop: Header=BB6_1038 Depth=1
	v_mov_b32_e32 v18, 0
	s_mov_b64 s[18:19], 0
	v_mov_b32_e32 v19, 0
	s_mov_b64 s[20:21], 0
.LBB6_1072:                             ;   Parent Loop BB6_1038 Depth=1
                                        ; =>  This Inner Loop Header: Depth=2
	s_add_u32 s24, s4, s20
	s_addc_u32 s25, s5, s21
	global_load_ubyte v4, v28, s[24:25]
	s_add_u32 s20, s20, 1
	s_addc_u32 s21, s21, 0
	s_waitcnt vmcnt(0)
	v_and_b32_e32 v27, 0xffff, v4
	v_lshlrev_b64 v[4:5], s18, v[27:28]
	s_add_u32 s18, s18, 8
	s_addc_u32 s19, s19, 0
	v_or_b32_e32 v18, v4, v18
	s_cmp_lg_u32 s23, s20
	v_or_b32_e32 v19, v5, v19
	s_cbranch_scc1 .LBB6_1072
	s_branch .LBB6_1075
.LBB6_1073:                             ;   in Loop: Header=BB6_1038 Depth=1
                                        ; implicit-def: $sgpr22
	s_branch .LBB6_1076
.LBB6_1074:                             ;   in Loop: Header=BB6_1038 Depth=1
	v_mov_b32_e32 v18, 0
	v_mov_b32_e32 v19, 0
.LBB6_1075:                             ;   in Loop: Header=BB6_1038 Depth=1
	s_mov_b32 s22, 0
	s_cbranch_execnz .LBB6_1077
.LBB6_1076:                             ;   in Loop: Header=BB6_1038 Depth=1
	global_load_dwordx2 v[18:19], v28, s[4:5]
	s_add_i32 s22, s23, -8
	s_add_u32 s4, s4, 8
	s_addc_u32 s5, s5, 0
.LBB6_1077:                             ;   in Loop: Header=BB6_1038 Depth=1
	s_cmp_gt_u32 s22, 7
	s_cbranch_scc1 .LBB6_1081
; %bb.1078:                             ;   in Loop: Header=BB6_1038 Depth=1
	s_cmp_eq_u32 s22, 0
	s_cbranch_scc1 .LBB6_1082
; %bb.1079:                             ;   in Loop: Header=BB6_1038 Depth=1
	v_mov_b32_e32 v20, 0
	s_mov_b64 s[18:19], 0
	v_mov_b32_e32 v21, 0
	s_mov_b64 s[20:21], 0
.LBB6_1080:                             ;   Parent Loop BB6_1038 Depth=1
                                        ; =>  This Inner Loop Header: Depth=2
	s_add_u32 s24, s4, s20
	s_addc_u32 s25, s5, s21
	global_load_ubyte v4, v28, s[24:25]
	s_add_u32 s20, s20, 1
	s_addc_u32 s21, s21, 0
	s_waitcnt vmcnt(0)
	v_and_b32_e32 v27, 0xffff, v4
	v_lshlrev_b64 v[4:5], s18, v[27:28]
	s_add_u32 s18, s18, 8
	s_addc_u32 s19, s19, 0
	v_or_b32_e32 v20, v4, v20
	s_cmp_lg_u32 s22, s20
	v_or_b32_e32 v21, v5, v21
	s_cbranch_scc1 .LBB6_1080
	s_branch .LBB6_1083
.LBB6_1081:                             ;   in Loop: Header=BB6_1038 Depth=1
                                        ; implicit-def: $vgpr20_vgpr21
                                        ; implicit-def: $sgpr23
	s_branch .LBB6_1084
.LBB6_1082:                             ;   in Loop: Header=BB6_1038 Depth=1
	v_mov_b32_e32 v20, 0
	v_mov_b32_e32 v21, 0
.LBB6_1083:                             ;   in Loop: Header=BB6_1038 Depth=1
	s_mov_b32 s23, 0
	s_cbranch_execnz .LBB6_1085
.LBB6_1084:                             ;   in Loop: Header=BB6_1038 Depth=1
	global_load_dwordx2 v[20:21], v28, s[4:5]
	s_add_i32 s23, s22, -8
	s_add_u32 s4, s4, 8
	s_addc_u32 s5, s5, 0
.LBB6_1085:                             ;   in Loop: Header=BB6_1038 Depth=1
	s_cmp_gt_u32 s23, 7
	s_cbranch_scc1 .LBB6_1089
; %bb.1086:                             ;   in Loop: Header=BB6_1038 Depth=1
	s_cmp_eq_u32 s23, 0
	s_cbranch_scc1 .LBB6_1090
; %bb.1087:                             ;   in Loop: Header=BB6_1038 Depth=1
	v_mov_b32_e32 v22, 0
	s_mov_b64 s[18:19], 0
	v_mov_b32_e32 v23, 0
	s_mov_b64 s[20:21], s[4:5]
.LBB6_1088:                             ;   Parent Loop BB6_1038 Depth=1
                                        ; =>  This Inner Loop Header: Depth=2
	global_load_ubyte v4, v28, s[20:21]
	s_add_i32 s23, s23, -1
	s_waitcnt vmcnt(0)
	v_and_b32_e32 v27, 0xffff, v4
	v_lshlrev_b64 v[4:5], s18, v[27:28]
	s_add_u32 s18, s18, 8
	s_addc_u32 s19, s19, 0
	s_add_u32 s20, s20, 1
	s_addc_u32 s21, s21, 0
	v_or_b32_e32 v22, v4, v22
	s_cmp_lg_u32 s23, 0
	v_or_b32_e32 v23, v5, v23
	s_cbranch_scc1 .LBB6_1088
	s_branch .LBB6_1091
.LBB6_1089:                             ;   in Loop: Header=BB6_1038 Depth=1
	s_branch .LBB6_1092
.LBB6_1090:                             ;   in Loop: Header=BB6_1038 Depth=1
	v_mov_b32_e32 v22, 0
	v_mov_b32_e32 v23, 0
.LBB6_1091:                             ;   in Loop: Header=BB6_1038 Depth=1
	s_cbranch_execnz .LBB6_1093
.LBB6_1092:                             ;   in Loop: Header=BB6_1038 Depth=1
	global_load_dwordx2 v[22:23], v28, s[4:5]
.LBB6_1093:                             ;   in Loop: Header=BB6_1038 Depth=1
	v_readfirstlane_b32 s4, v32
	s_waitcnt vmcnt(0)
	v_mov_b32_e32 v4, 0
	v_mov_b32_e32 v5, 0
	v_cmp_eq_u32_e64 s[4:5], s4, v32
	s_and_saveexec_b64 s[18:19], s[4:5]
	s_cbranch_execz .LBB6_1099
; %bb.1094:                             ;   in Loop: Header=BB6_1038 Depth=1
	global_load_dwordx2 v[26:27], v28, s[6:7] offset:24 glc
	s_waitcnt vmcnt(0)
	buffer_wbinvl1_vol
	global_load_dwordx2 v[4:5], v28, s[6:7] offset:40
	global_load_dwordx2 v[8:9], v28, s[6:7]
	s_waitcnt vmcnt(1)
	v_and_b32_e32 v4, v4, v26
	v_and_b32_e32 v5, v5, v27
	v_mul_lo_u32 v5, v5, 24
	v_mul_hi_u32 v24, v4, 24
	v_mul_lo_u32 v4, v4, 24
	v_add_u32_e32 v5, v24, v5
	s_waitcnt vmcnt(0)
	v_add_co_u32_e32 v4, vcc, v8, v4
	v_addc_co_u32_e32 v5, vcc, v9, v5, vcc
	global_load_dwordx2 v[24:25], v[4:5], off glc
	s_waitcnt vmcnt(0)
	global_atomic_cmpswap_x2 v[4:5], v28, v[24:27], s[6:7] offset:24 glc
	s_waitcnt vmcnt(0)
	buffer_wbinvl1_vol
	v_cmp_ne_u64_e32 vcc, v[4:5], v[26:27]
	s_and_saveexec_b64 s[20:21], vcc
	s_cbranch_execz .LBB6_1098
; %bb.1095:                             ;   in Loop: Header=BB6_1038 Depth=1
	s_mov_b64 s[22:23], 0
.LBB6_1096:                             ;   Parent Loop BB6_1038 Depth=1
                                        ; =>  This Inner Loop Header: Depth=2
	s_sleep 1
	global_load_dwordx2 v[8:9], v28, s[6:7] offset:40
	global_load_dwordx2 v[24:25], v28, s[6:7]
	v_mov_b32_e32 v27, v5
	v_mov_b32_e32 v26, v4
	s_waitcnt vmcnt(1)
	v_and_b32_e32 v4, v8, v26
	s_waitcnt vmcnt(0)
	v_mad_u64_u32 v[4:5], s[24:25], v4, 24, v[24:25]
	v_and_b32_e32 v8, v9, v27
	v_mad_u64_u32 v[8:9], s[24:25], v8, 24, v[5:6]
	v_mov_b32_e32 v5, v8
	global_load_dwordx2 v[24:25], v[4:5], off glc
	s_waitcnt vmcnt(0)
	global_atomic_cmpswap_x2 v[4:5], v28, v[24:27], s[6:7] offset:24 glc
	s_waitcnt vmcnt(0)
	buffer_wbinvl1_vol
	v_cmp_eq_u64_e32 vcc, v[4:5], v[26:27]
	s_or_b64 s[22:23], vcc, s[22:23]
	s_andn2_b64 exec, exec, s[22:23]
	s_cbranch_execnz .LBB6_1096
; %bb.1097:                             ;   in Loop: Header=BB6_1038 Depth=1
	s_or_b64 exec, exec, s[22:23]
.LBB6_1098:                             ;   in Loop: Header=BB6_1038 Depth=1
	s_or_b64 exec, exec, s[20:21]
.LBB6_1099:                             ;   in Loop: Header=BB6_1038 Depth=1
	s_or_b64 exec, exec, s[18:19]
	global_load_dwordx2 v[8:9], v28, s[6:7] offset:40
	global_load_dwordx4 v[24:27], v28, s[6:7]
	v_readfirstlane_b32 s18, v4
	v_readfirstlane_b32 s19, v5
	s_mov_b64 s[22:23], exec
	s_waitcnt vmcnt(1)
	v_readfirstlane_b32 s20, v8
	v_readfirstlane_b32 s21, v9
	s_and_b64 s[20:21], s[18:19], s[20:21]
	s_mul_i32 s24, s21, 24
	s_mul_hi_u32 s25, s20, 24
	s_mul_i32 s26, s20, 24
	s_add_i32 s24, s25, s24
	v_mov_b32_e32 v4, s24
	s_waitcnt vmcnt(0)
	v_add_co_u32_e32 v29, vcc, s26, v24
	v_addc_co_u32_e32 v30, vcc, v25, v4, vcc
	s_and_saveexec_b64 s[24:25], s[4:5]
	s_cbranch_execz .LBB6_1101
; %bb.1100:                             ;   in Loop: Header=BB6_1038 Depth=1
	v_mov_b32_e32 v4, s22
	v_mov_b32_e32 v5, s23
	global_store_dwordx4 v[29:30], v[4:7], off offset:8
.LBB6_1101:                             ;   in Loop: Header=BB6_1038 Depth=1
	s_or_b64 exec, exec, s[24:25]
	v_cmp_gt_u64_e64 vcc, s[14:15], 56
	v_or_b32_e32 v4, 0, v3
	v_cndmask_b32_e32 v9, v4, v3, vcc
	v_or_b32_e32 v3, v2, v33
	s_lshl_b32 s22, s16, 2
	v_cndmask_b32_e32 v2, v3, v2, vcc
	s_add_i32 s22, s22, 28
	s_and_b32 s22, s22, 0x1e0
	v_and_b32_e32 v2, 0xffffff1f, v2
	s_lshl_b64 s[20:21], s[20:21], 12
	v_or_b32_e32 v8, s22, v2
	v_mov_b32_e32 v2, s21
	v_add_co_u32_e32 v26, vcc, s20, v26
	v_addc_co_u32_e32 v34, vcc, v27, v2, vcc
	v_readfirstlane_b32 s20, v26
	v_readfirstlane_b32 s21, v34
	s_nop 4
	global_store_dwordx4 v31, v[8:11], s[20:21]
	global_store_dwordx4 v31, v[12:15], s[20:21] offset:16
	global_store_dwordx4 v31, v[16:19], s[20:21] offset:32
	;; [unrolled: 1-line block ×3, first 2 shown]
	s_and_saveexec_b64 s[20:21], s[4:5]
	s_cbranch_execz .LBB6_1109
; %bb.1102:                             ;   in Loop: Header=BB6_1038 Depth=1
	global_load_dwordx2 v[12:13], v28, s[6:7] offset:32 glc
	global_load_dwordx2 v[2:3], v28, s[6:7] offset:40
	v_mov_b32_e32 v10, s18
	v_mov_b32_e32 v11, s19
	s_waitcnt vmcnt(0)
	v_readfirstlane_b32 s22, v2
	v_readfirstlane_b32 s23, v3
	s_and_b64 s[22:23], s[22:23], s[18:19]
	s_mul_i32 s23, s23, 24
	s_mul_hi_u32 s24, s22, 24
	s_mul_i32 s22, s22, 24
	s_add_i32 s23, s24, s23
	v_mov_b32_e32 v2, s23
	v_add_co_u32_e32 v8, vcc, s22, v24
	v_addc_co_u32_e32 v9, vcc, v25, v2, vcc
	global_store_dwordx2 v[8:9], v[12:13], off
	s_waitcnt vmcnt(0)
	global_atomic_cmpswap_x2 v[4:5], v28, v[10:13], s[6:7] offset:32 glc
	s_waitcnt vmcnt(0)
	v_cmp_ne_u64_e32 vcc, v[4:5], v[12:13]
	s_and_saveexec_b64 s[22:23], vcc
	s_cbranch_execz .LBB6_1105
; %bb.1103:                             ;   in Loop: Header=BB6_1038 Depth=1
	s_mov_b64 s[24:25], 0
.LBB6_1104:                             ;   Parent Loop BB6_1038 Depth=1
                                        ; =>  This Inner Loop Header: Depth=2
	s_sleep 1
	global_store_dwordx2 v[8:9], v[4:5], off
	v_mov_b32_e32 v2, s18
	v_mov_b32_e32 v3, s19
	s_waitcnt vmcnt(0)
	global_atomic_cmpswap_x2 v[2:3], v28, v[2:5], s[6:7] offset:32 glc
	s_waitcnt vmcnt(0)
	v_cmp_eq_u64_e32 vcc, v[2:3], v[4:5]
	v_mov_b32_e32 v5, v3
	s_or_b64 s[24:25], vcc, s[24:25]
	v_mov_b32_e32 v4, v2
	s_andn2_b64 exec, exec, s[24:25]
	s_cbranch_execnz .LBB6_1104
.LBB6_1105:                             ;   in Loop: Header=BB6_1038 Depth=1
	s_or_b64 exec, exec, s[22:23]
	global_load_dwordx2 v[2:3], v28, s[6:7] offset:16
	s_mov_b64 s[24:25], exec
	v_mbcnt_lo_u32_b32 v4, s24, 0
	v_mbcnt_hi_u32_b32 v4, s25, v4
	v_cmp_eq_u32_e32 vcc, 0, v4
	s_and_saveexec_b64 s[22:23], vcc
	s_cbranch_execz .LBB6_1107
; %bb.1106:                             ;   in Loop: Header=BB6_1038 Depth=1
	s_bcnt1_i32_b64 s24, s[24:25]
	v_mov_b32_e32 v27, s24
	s_waitcnt vmcnt(0)
	global_atomic_add_x2 v[2:3], v[27:28], off offset:8
.LBB6_1107:                             ;   in Loop: Header=BB6_1038 Depth=1
	s_or_b64 exec, exec, s[22:23]
	s_waitcnt vmcnt(0)
	global_load_dwordx2 v[4:5], v[2:3], off offset:16
	s_waitcnt vmcnt(0)
	v_cmp_eq_u64_e32 vcc, 0, v[4:5]
	s_cbranch_vccnz .LBB6_1109
; %bb.1108:                             ;   in Loop: Header=BB6_1038 Depth=1
	global_load_dword v27, v[2:3], off offset:24
	s_waitcnt vmcnt(0)
	v_and_b32_e32 v2, 0xffffff, v27
	v_readfirstlane_b32 m0, v2
	global_store_dwordx2 v[4:5], v[27:28], off
	s_sendmsg sendmsg(MSG_INTERRUPT)
.LBB6_1109:                             ;   in Loop: Header=BB6_1038 Depth=1
	s_or_b64 exec, exec, s[20:21]
	v_add_co_u32_e32 v2, vcc, v26, v31
	v_addc_co_u32_e32 v3, vcc, 0, v34, vcc
	s_branch .LBB6_1113
.LBB6_1110:                             ;   in Loop: Header=BB6_1113 Depth=2
	s_or_b64 exec, exec, s[20:21]
	v_readfirstlane_b32 s20, v4
	s_cmp_eq_u32 s20, 0
	s_cbranch_scc1 .LBB6_1112
; %bb.1111:                             ;   in Loop: Header=BB6_1113 Depth=2
	s_sleep 1
	s_cbranch_execnz .LBB6_1113
	s_branch .LBB6_1115
.LBB6_1112:                             ;   in Loop: Header=BB6_1038 Depth=1
	s_branch .LBB6_1115
.LBB6_1113:                             ;   Parent Loop BB6_1038 Depth=1
                                        ; =>  This Inner Loop Header: Depth=2
	v_mov_b32_e32 v4, 1
	s_and_saveexec_b64 s[20:21], s[4:5]
	s_cbranch_execz .LBB6_1110
; %bb.1114:                             ;   in Loop: Header=BB6_1113 Depth=2
	global_load_dword v4, v[29:30], off offset:20 glc
	s_waitcnt vmcnt(0)
	buffer_wbinvl1_vol
	v_and_b32_e32 v4, 1, v4
	s_branch .LBB6_1110
.LBB6_1115:                             ;   in Loop: Header=BB6_1038 Depth=1
	global_load_dwordx4 v[2:5], v[2:3], off
	s_and_saveexec_b64 s[20:21], s[4:5]
	s_cbranch_execz .LBB6_1037
; %bb.1116:                             ;   in Loop: Header=BB6_1038 Depth=1
	global_load_dwordx2 v[4:5], v28, s[6:7] offset:40
	global_load_dwordx2 v[12:13], v28, s[6:7] offset:24 glc
	global_load_dwordx2 v[14:15], v28, s[6:7]
	v_mov_b32_e32 v9, s19
	s_waitcnt vmcnt(2)
	v_add_co_u32_e32 v10, vcc, 1, v4
	v_addc_co_u32_e32 v11, vcc, 0, v5, vcc
	v_add_co_u32_e32 v8, vcc, s18, v10
	v_addc_co_u32_e32 v9, vcc, v11, v9, vcc
	v_cmp_eq_u64_e32 vcc, 0, v[8:9]
	v_cndmask_b32_e32 v9, v9, v11, vcc
	v_cndmask_b32_e32 v8, v8, v10, vcc
	v_and_b32_e32 v5, v9, v5
	v_and_b32_e32 v4, v8, v4
	v_mul_lo_u32 v5, v5, 24
	v_mul_hi_u32 v11, v4, 24
	v_mul_lo_u32 v4, v4, 24
	s_waitcnt vmcnt(1)
	v_mov_b32_e32 v10, v12
	v_add_u32_e32 v5, v11, v5
	s_waitcnt vmcnt(0)
	v_add_co_u32_e32 v4, vcc, v14, v4
	v_addc_co_u32_e32 v5, vcc, v15, v5, vcc
	global_store_dwordx2 v[4:5], v[12:13], off
	v_mov_b32_e32 v11, v13
	s_waitcnt vmcnt(0)
	global_atomic_cmpswap_x2 v[10:11], v28, v[8:11], s[6:7] offset:24 glc
	s_waitcnt vmcnt(0)
	v_cmp_ne_u64_e32 vcc, v[10:11], v[12:13]
	s_and_b64 exec, exec, vcc
	s_cbranch_execz .LBB6_1037
; %bb.1117:                             ;   in Loop: Header=BB6_1038 Depth=1
	s_mov_b64 s[4:5], 0
.LBB6_1118:                             ;   Parent Loop BB6_1038 Depth=1
                                        ; =>  This Inner Loop Header: Depth=2
	s_sleep 1
	global_store_dwordx2 v[4:5], v[10:11], off
	s_waitcnt vmcnt(0)
	global_atomic_cmpswap_x2 v[12:13], v28, v[8:11], s[6:7] offset:24 glc
	s_waitcnt vmcnt(0)
	v_cmp_eq_u64_e32 vcc, v[12:13], v[10:11]
	v_mov_b32_e32 v10, v12
	s_or_b64 s[4:5], vcc, s[4:5]
	v_mov_b32_e32 v11, v13
	s_andn2_b64 exec, exec, s[4:5]
	s_cbranch_execnz .LBB6_1118
	s_branch .LBB6_1037
.LBB6_1119:
	s_branch .LBB6_1147
.LBB6_1120:
                                        ; implicit-def: $vgpr2_vgpr3
	s_cbranch_execz .LBB6_1147
; %bb.1121:
	v_readfirstlane_b32 s4, v32
	v_mov_b32_e32 v8, 0
	v_mov_b32_e32 v9, 0
	v_cmp_eq_u32_e64 s[4:5], s4, v32
	s_and_saveexec_b64 s[12:13], s[4:5]
	s_cbranch_execz .LBB6_1127
; %bb.1122:
	s_waitcnt vmcnt(0)
	v_mov_b32_e32 v2, 0
	global_load_dwordx2 v[5:6], v2, s[6:7] offset:24 glc
	s_waitcnt vmcnt(0)
	buffer_wbinvl1_vol
	global_load_dwordx2 v[3:4], v2, s[6:7] offset:40
	global_load_dwordx2 v[7:8], v2, s[6:7]
	s_waitcnt vmcnt(1)
	v_and_b32_e32 v3, v3, v5
	v_and_b32_e32 v4, v4, v6
	v_mul_lo_u32 v4, v4, 24
	v_mul_hi_u32 v9, v3, 24
	v_mul_lo_u32 v3, v3, 24
	v_add_u32_e32 v4, v9, v4
	s_waitcnt vmcnt(0)
	v_add_co_u32_e32 v3, vcc, v7, v3
	v_addc_co_u32_e32 v4, vcc, v8, v4, vcc
	global_load_dwordx2 v[3:4], v[3:4], off glc
	s_waitcnt vmcnt(0)
	global_atomic_cmpswap_x2 v[8:9], v2, v[3:6], s[6:7] offset:24 glc
	s_waitcnt vmcnt(0)
	buffer_wbinvl1_vol
	v_cmp_ne_u64_e32 vcc, v[8:9], v[5:6]
	s_and_saveexec_b64 s[14:15], vcc
	s_cbranch_execz .LBB6_1126
; %bb.1123:
	s_mov_b64 s[16:17], 0
.LBB6_1124:                             ; =>This Inner Loop Header: Depth=1
	s_sleep 1
	global_load_dwordx2 v[3:4], v2, s[6:7] offset:40
	global_load_dwordx2 v[10:11], v2, s[6:7]
	v_mov_b32_e32 v5, v8
	v_mov_b32_e32 v6, v9
	s_waitcnt vmcnt(1)
	v_and_b32_e32 v3, v3, v5
	s_waitcnt vmcnt(0)
	v_mad_u64_u32 v[7:8], s[18:19], v3, 24, v[10:11]
	v_and_b32_e32 v4, v4, v6
	v_mov_b32_e32 v3, v8
	v_mad_u64_u32 v[3:4], s[18:19], v4, 24, v[3:4]
	v_mov_b32_e32 v8, v3
	global_load_dwordx2 v[3:4], v[7:8], off glc
	s_waitcnt vmcnt(0)
	global_atomic_cmpswap_x2 v[8:9], v2, v[3:6], s[6:7] offset:24 glc
	s_waitcnt vmcnt(0)
	buffer_wbinvl1_vol
	v_cmp_eq_u64_e32 vcc, v[8:9], v[5:6]
	s_or_b64 s[16:17], vcc, s[16:17]
	s_andn2_b64 exec, exec, s[16:17]
	s_cbranch_execnz .LBB6_1124
; %bb.1125:
	s_or_b64 exec, exec, s[16:17]
.LBB6_1126:
	s_or_b64 exec, exec, s[14:15]
.LBB6_1127:
	s_or_b64 exec, exec, s[12:13]
	s_waitcnt vmcnt(0)
	v_mov_b32_e32 v2, 0
	global_load_dwordx2 v[10:11], v2, s[6:7] offset:40
	global_load_dwordx4 v[4:7], v2, s[6:7]
	v_readfirstlane_b32 s12, v8
	v_readfirstlane_b32 s13, v9
	s_mov_b64 s[14:15], exec
	s_waitcnt vmcnt(1)
	v_readfirstlane_b32 s16, v10
	v_readfirstlane_b32 s17, v11
	s_and_b64 s[16:17], s[12:13], s[16:17]
	s_mul_i32 s18, s17, 24
	s_mul_hi_u32 s19, s16, 24
	s_mul_i32 s20, s16, 24
	s_add_i32 s18, s19, s18
	v_mov_b32_e32 v3, s18
	s_waitcnt vmcnt(0)
	v_add_co_u32_e32 v8, vcc, s20, v4
	v_addc_co_u32_e32 v9, vcc, v5, v3, vcc
	s_and_saveexec_b64 s[18:19], s[4:5]
	s_cbranch_execz .LBB6_1129
; %bb.1128:
	v_mov_b32_e32 v10, s14
	v_mov_b32_e32 v11, s15
	;; [unrolled: 1-line block ×4, first 2 shown]
	global_store_dwordx4 v[8:9], v[10:13], off offset:8
.LBB6_1129:
	s_or_b64 exec, exec, s[18:19]
	s_lshl_b64 s[14:15], s[16:17], 12
	v_mov_b32_e32 v3, s15
	v_add_co_u32_e32 v10, vcc, s14, v6
	v_addc_co_u32_e32 v11, vcc, v7, v3, vcc
	s_movk_i32 s14, 0xff1f
	v_and_or_b32 v0, v0, s14, 32
	s_mov_b32 s16, 0
	v_mov_b32_e32 v3, v2
	v_readfirstlane_b32 s14, v10
	v_readfirstlane_b32 s15, v11
	v_add_co_u32_e32 v6, vcc, v10, v31
	s_mov_b32 s17, s16
	s_mov_b32 s18, s16
	;; [unrolled: 1-line block ×3, first 2 shown]
	s_nop 0
	global_store_dwordx4 v31, v[0:3], s[14:15]
	v_addc_co_u32_e32 v7, vcc, 0, v11, vcc
	v_mov_b32_e32 v0, s16
	v_mov_b32_e32 v1, s17
	;; [unrolled: 1-line block ×4, first 2 shown]
	global_store_dwordx4 v31, v[0:3], s[14:15] offset:16
	global_store_dwordx4 v31, v[0:3], s[14:15] offset:32
	;; [unrolled: 1-line block ×3, first 2 shown]
	s_and_saveexec_b64 s[14:15], s[4:5]
	s_cbranch_execz .LBB6_1137
; %bb.1130:
	v_mov_b32_e32 v10, 0
	global_load_dwordx2 v[13:14], v10, s[6:7] offset:32 glc
	global_load_dwordx2 v[0:1], v10, s[6:7] offset:40
	v_mov_b32_e32 v11, s12
	v_mov_b32_e32 v12, s13
	s_waitcnt vmcnt(0)
	v_readfirstlane_b32 s16, v0
	v_readfirstlane_b32 s17, v1
	s_and_b64 s[16:17], s[16:17], s[12:13]
	s_mul_i32 s17, s17, 24
	s_mul_hi_u32 s18, s16, 24
	s_mul_i32 s16, s16, 24
	s_add_i32 s17, s18, s17
	v_mov_b32_e32 v0, s17
	v_add_co_u32_e32 v4, vcc, s16, v4
	v_addc_co_u32_e32 v5, vcc, v5, v0, vcc
	global_store_dwordx2 v[4:5], v[13:14], off
	s_waitcnt vmcnt(0)
	global_atomic_cmpswap_x2 v[2:3], v10, v[11:14], s[6:7] offset:32 glc
	s_waitcnt vmcnt(0)
	v_cmp_ne_u64_e32 vcc, v[2:3], v[13:14]
	s_and_saveexec_b64 s[16:17], vcc
	s_cbranch_execz .LBB6_1133
; %bb.1131:
	s_mov_b64 s[18:19], 0
.LBB6_1132:                             ; =>This Inner Loop Header: Depth=1
	s_sleep 1
	global_store_dwordx2 v[4:5], v[2:3], off
	v_mov_b32_e32 v0, s12
	v_mov_b32_e32 v1, s13
	s_waitcnt vmcnt(0)
	global_atomic_cmpswap_x2 v[0:1], v10, v[0:3], s[6:7] offset:32 glc
	s_waitcnt vmcnt(0)
	v_cmp_eq_u64_e32 vcc, v[0:1], v[2:3]
	v_mov_b32_e32 v3, v1
	s_or_b64 s[18:19], vcc, s[18:19]
	v_mov_b32_e32 v2, v0
	s_andn2_b64 exec, exec, s[18:19]
	s_cbranch_execnz .LBB6_1132
.LBB6_1133:
	s_or_b64 exec, exec, s[16:17]
	v_mov_b32_e32 v3, 0
	global_load_dwordx2 v[0:1], v3, s[6:7] offset:16
	s_mov_b64 s[16:17], exec
	v_mbcnt_lo_u32_b32 v2, s16, 0
	v_mbcnt_hi_u32_b32 v2, s17, v2
	v_cmp_eq_u32_e32 vcc, 0, v2
	s_and_saveexec_b64 s[18:19], vcc
	s_cbranch_execz .LBB6_1135
; %bb.1134:
	s_bcnt1_i32_b64 s16, s[16:17]
	v_mov_b32_e32 v2, s16
	s_waitcnt vmcnt(0)
	global_atomic_add_x2 v[0:1], v[2:3], off offset:8
.LBB6_1135:
	s_or_b64 exec, exec, s[18:19]
	s_waitcnt vmcnt(0)
	global_load_dwordx2 v[2:3], v[0:1], off offset:16
	s_waitcnt vmcnt(0)
	v_cmp_eq_u64_e32 vcc, 0, v[2:3]
	s_cbranch_vccnz .LBB6_1137
; %bb.1136:
	global_load_dword v0, v[0:1], off offset:24
	v_mov_b32_e32 v1, 0
	s_waitcnt vmcnt(0)
	global_store_dwordx2 v[2:3], v[0:1], off
	v_and_b32_e32 v0, 0xffffff, v0
	v_readfirstlane_b32 m0, v0
	s_sendmsg sendmsg(MSG_INTERRUPT)
.LBB6_1137:
	s_or_b64 exec, exec, s[14:15]
	s_branch .LBB6_1141
.LBB6_1138:                             ;   in Loop: Header=BB6_1141 Depth=1
	s_or_b64 exec, exec, s[14:15]
	v_readfirstlane_b32 s14, v0
	s_cmp_eq_u32 s14, 0
	s_cbranch_scc1 .LBB6_1140
; %bb.1139:                             ;   in Loop: Header=BB6_1141 Depth=1
	s_sleep 1
	s_cbranch_execnz .LBB6_1141
	s_branch .LBB6_1143
.LBB6_1140:
	s_branch .LBB6_1143
.LBB6_1141:                             ; =>This Inner Loop Header: Depth=1
	v_mov_b32_e32 v0, 1
	s_and_saveexec_b64 s[14:15], s[4:5]
	s_cbranch_execz .LBB6_1138
; %bb.1142:                             ;   in Loop: Header=BB6_1141 Depth=1
	global_load_dword v0, v[8:9], off offset:20 glc
	s_waitcnt vmcnt(0)
	buffer_wbinvl1_vol
	v_and_b32_e32 v0, 1, v0
	s_branch .LBB6_1138
.LBB6_1143:
	global_load_dwordx2 v[2:3], v[6:7], off
	s_and_saveexec_b64 s[14:15], s[4:5]
	s_cbranch_execz .LBB6_1146
; %bb.1144:
	v_mov_b32_e32 v8, 0
	global_load_dwordx2 v[0:1], v8, s[6:7] offset:40
	global_load_dwordx2 v[9:10], v8, s[6:7] offset:24 glc
	global_load_dwordx2 v[11:12], v8, s[6:7]
	v_mov_b32_e32 v5, s13
	s_mov_b64 s[4:5], 0
	s_waitcnt vmcnt(2)
	v_add_co_u32_e32 v6, vcc, 1, v0
	v_addc_co_u32_e32 v7, vcc, 0, v1, vcc
	v_add_co_u32_e32 v4, vcc, s12, v6
	v_addc_co_u32_e32 v5, vcc, v7, v5, vcc
	v_cmp_eq_u64_e32 vcc, 0, v[4:5]
	v_cndmask_b32_e32 v5, v5, v7, vcc
	v_cndmask_b32_e32 v4, v4, v6, vcc
	v_and_b32_e32 v1, v5, v1
	v_and_b32_e32 v0, v4, v0
	v_mul_lo_u32 v1, v1, 24
	v_mul_hi_u32 v7, v0, 24
	v_mul_lo_u32 v0, v0, 24
	s_waitcnt vmcnt(1)
	v_mov_b32_e32 v6, v9
	v_add_u32_e32 v1, v7, v1
	s_waitcnt vmcnt(0)
	v_add_co_u32_e32 v0, vcc, v11, v0
	v_addc_co_u32_e32 v1, vcc, v12, v1, vcc
	global_store_dwordx2 v[0:1], v[9:10], off
	v_mov_b32_e32 v7, v10
	s_waitcnt vmcnt(0)
	global_atomic_cmpswap_x2 v[6:7], v8, v[4:7], s[6:7] offset:24 glc
	s_waitcnt vmcnt(0)
	v_cmp_ne_u64_e32 vcc, v[6:7], v[9:10]
	s_and_b64 exec, exec, vcc
	s_cbranch_execz .LBB6_1146
.LBB6_1145:                             ; =>This Inner Loop Header: Depth=1
	s_sleep 1
	global_store_dwordx2 v[0:1], v[6:7], off
	s_waitcnt vmcnt(0)
	global_atomic_cmpswap_x2 v[9:10], v8, v[4:7], s[6:7] offset:24 glc
	s_waitcnt vmcnt(0)
	v_cmp_eq_u64_e32 vcc, v[9:10], v[6:7]
	v_mov_b32_e32 v6, v9
	s_or_b64 s[4:5], vcc, s[4:5]
	v_mov_b32_e32 v7, v10
	s_andn2_b64 exec, exec, s[4:5]
	s_cbranch_execnz .LBB6_1145
.LBB6_1146:
	s_or_b64 exec, exec, s[14:15]
.LBB6_1147:
	v_readfirstlane_b32 s4, v32
	s_waitcnt vmcnt(0)
	v_mov_b32_e32 v0, 0
	v_mov_b32_e32 v1, 0
	v_cmp_eq_u32_e64 s[4:5], s4, v32
	s_and_saveexec_b64 s[12:13], s[4:5]
	s_cbranch_execz .LBB6_1153
; %bb.1148:
	v_mov_b32_e32 v4, 0
	global_load_dwordx2 v[7:8], v4, s[6:7] offset:24 glc
	s_waitcnt vmcnt(0)
	buffer_wbinvl1_vol
	global_load_dwordx2 v[0:1], v4, s[6:7] offset:40
	global_load_dwordx2 v[5:6], v4, s[6:7]
	s_waitcnt vmcnt(1)
	v_and_b32_e32 v0, v0, v7
	v_and_b32_e32 v1, v1, v8
	v_mul_lo_u32 v1, v1, 24
	v_mul_hi_u32 v9, v0, 24
	v_mul_lo_u32 v0, v0, 24
	v_add_u32_e32 v1, v9, v1
	s_waitcnt vmcnt(0)
	v_add_co_u32_e32 v0, vcc, v5, v0
	v_addc_co_u32_e32 v1, vcc, v6, v1, vcc
	global_load_dwordx2 v[5:6], v[0:1], off glc
	s_waitcnt vmcnt(0)
	global_atomic_cmpswap_x2 v[0:1], v4, v[5:8], s[6:7] offset:24 glc
	s_waitcnt vmcnt(0)
	buffer_wbinvl1_vol
	v_cmp_ne_u64_e32 vcc, v[0:1], v[7:8]
	s_and_saveexec_b64 s[14:15], vcc
	s_cbranch_execz .LBB6_1152
; %bb.1149:
	s_mov_b64 s[16:17], 0
.LBB6_1150:                             ; =>This Inner Loop Header: Depth=1
	s_sleep 1
	global_load_dwordx2 v[5:6], v4, s[6:7] offset:40
	global_load_dwordx2 v[9:10], v4, s[6:7]
	v_mov_b32_e32 v8, v1
	v_mov_b32_e32 v7, v0
	s_waitcnt vmcnt(1)
	v_and_b32_e32 v0, v5, v7
	s_waitcnt vmcnt(0)
	v_mad_u64_u32 v[0:1], s[18:19], v0, 24, v[9:10]
	v_and_b32_e32 v5, v6, v8
	v_mad_u64_u32 v[5:6], s[18:19], v5, 24, v[1:2]
	v_mov_b32_e32 v1, v5
	global_load_dwordx2 v[5:6], v[0:1], off glc
	s_waitcnt vmcnt(0)
	global_atomic_cmpswap_x2 v[0:1], v4, v[5:8], s[6:7] offset:24 glc
	s_waitcnt vmcnt(0)
	buffer_wbinvl1_vol
	v_cmp_eq_u64_e32 vcc, v[0:1], v[7:8]
	s_or_b64 s[16:17], vcc, s[16:17]
	s_andn2_b64 exec, exec, s[16:17]
	s_cbranch_execnz .LBB6_1150
; %bb.1151:
	s_or_b64 exec, exec, s[16:17]
.LBB6_1152:
	s_or_b64 exec, exec, s[14:15]
.LBB6_1153:
	s_or_b64 exec, exec, s[12:13]
	v_mov_b32_e32 v5, 0
	global_load_dwordx2 v[10:11], v5, s[6:7] offset:40
	global_load_dwordx4 v[6:9], v5, s[6:7]
	v_readfirstlane_b32 s12, v0
	v_readfirstlane_b32 s13, v1
	s_mov_b64 s[14:15], exec
	s_waitcnt vmcnt(1)
	v_readfirstlane_b32 s16, v10
	v_readfirstlane_b32 s17, v11
	s_and_b64 s[16:17], s[12:13], s[16:17]
	s_mul_i32 s18, s17, 24
	s_mul_hi_u32 s19, s16, 24
	s_mul_i32 s20, s16, 24
	s_add_i32 s18, s19, s18
	v_mov_b32_e32 v0, s18
	s_waitcnt vmcnt(0)
	v_add_co_u32_e32 v10, vcc, s20, v6
	v_addc_co_u32_e32 v11, vcc, v7, v0, vcc
	s_and_saveexec_b64 s[18:19], s[4:5]
	s_cbranch_execz .LBB6_1155
; %bb.1154:
	v_mov_b32_e32 v12, s14
	v_mov_b32_e32 v13, s15
	;; [unrolled: 1-line block ×4, first 2 shown]
	global_store_dwordx4 v[10:11], v[12:15], off offset:8
.LBB6_1155:
	s_or_b64 exec, exec, s[18:19]
	s_lshl_b64 s[14:15], s[16:17], 12
	v_mov_b32_e32 v0, s15
	v_add_co_u32_e32 v1, vcc, s14, v8
	v_addc_co_u32_e32 v0, vcc, v9, v0, vcc
	s_movk_i32 s14, 0xff1d
	v_and_or_b32 v2, v2, s14, 34
	s_mov_b32 s16, 0
	v_mov_b32_e32 v4, 58
	v_readfirstlane_b32 s14, v1
	v_readfirstlane_b32 s15, v0
	s_mov_b32 s17, s16
	s_mov_b32 s18, s16
	;; [unrolled: 1-line block ×3, first 2 shown]
	s_nop 1
	global_store_dwordx4 v31, v[2:5], s[14:15]
	v_mov_b32_e32 v0, s16
	v_mov_b32_e32 v1, s17
	v_mov_b32_e32 v2, s18
	v_mov_b32_e32 v3, s19
	global_store_dwordx4 v31, v[0:3], s[14:15] offset:16
	global_store_dwordx4 v31, v[0:3], s[14:15] offset:32
	;; [unrolled: 1-line block ×3, first 2 shown]
	s_and_saveexec_b64 s[14:15], s[4:5]
	s_cbranch_execz .LBB6_1163
; %bb.1156:
	v_mov_b32_e32 v8, 0
	global_load_dwordx2 v[14:15], v8, s[6:7] offset:32 glc
	global_load_dwordx2 v[0:1], v8, s[6:7] offset:40
	v_mov_b32_e32 v12, s12
	v_mov_b32_e32 v13, s13
	s_waitcnt vmcnt(0)
	v_readfirstlane_b32 s16, v0
	v_readfirstlane_b32 s17, v1
	s_and_b64 s[16:17], s[16:17], s[12:13]
	s_mul_i32 s17, s17, 24
	s_mul_hi_u32 s18, s16, 24
	s_mul_i32 s16, s16, 24
	s_add_i32 s17, s18, s17
	v_mov_b32_e32 v0, s17
	v_add_co_u32_e32 v4, vcc, s16, v6
	v_addc_co_u32_e32 v5, vcc, v7, v0, vcc
	global_store_dwordx2 v[4:5], v[14:15], off
	s_waitcnt vmcnt(0)
	global_atomic_cmpswap_x2 v[2:3], v8, v[12:15], s[6:7] offset:32 glc
	s_waitcnt vmcnt(0)
	v_cmp_ne_u64_e32 vcc, v[2:3], v[14:15]
	s_and_saveexec_b64 s[16:17], vcc
	s_cbranch_execz .LBB6_1159
; %bb.1157:
	s_mov_b64 s[18:19], 0
.LBB6_1158:                             ; =>This Inner Loop Header: Depth=1
	s_sleep 1
	global_store_dwordx2 v[4:5], v[2:3], off
	v_mov_b32_e32 v0, s12
	v_mov_b32_e32 v1, s13
	s_waitcnt vmcnt(0)
	global_atomic_cmpswap_x2 v[0:1], v8, v[0:3], s[6:7] offset:32 glc
	s_waitcnt vmcnt(0)
	v_cmp_eq_u64_e32 vcc, v[0:1], v[2:3]
	v_mov_b32_e32 v3, v1
	s_or_b64 s[18:19], vcc, s[18:19]
	v_mov_b32_e32 v2, v0
	s_andn2_b64 exec, exec, s[18:19]
	s_cbranch_execnz .LBB6_1158
.LBB6_1159:
	s_or_b64 exec, exec, s[16:17]
	v_mov_b32_e32 v3, 0
	global_load_dwordx2 v[0:1], v3, s[6:7] offset:16
	s_mov_b64 s[16:17], exec
	v_mbcnt_lo_u32_b32 v2, s16, 0
	v_mbcnt_hi_u32_b32 v2, s17, v2
	v_cmp_eq_u32_e32 vcc, 0, v2
	s_and_saveexec_b64 s[18:19], vcc
	s_cbranch_execz .LBB6_1161
; %bb.1160:
	s_bcnt1_i32_b64 s16, s[16:17]
	v_mov_b32_e32 v2, s16
	s_waitcnt vmcnt(0)
	global_atomic_add_x2 v[0:1], v[2:3], off offset:8
.LBB6_1161:
	s_or_b64 exec, exec, s[18:19]
	s_waitcnt vmcnt(0)
	global_load_dwordx2 v[2:3], v[0:1], off offset:16
	s_waitcnt vmcnt(0)
	v_cmp_eq_u64_e32 vcc, 0, v[2:3]
	s_cbranch_vccnz .LBB6_1163
; %bb.1162:
	global_load_dword v0, v[0:1], off offset:24
	v_mov_b32_e32 v1, 0
	s_waitcnt vmcnt(0)
	global_store_dwordx2 v[2:3], v[0:1], off
	v_and_b32_e32 v0, 0xffffff, v0
	v_readfirstlane_b32 m0, v0
	s_sendmsg sendmsg(MSG_INTERRUPT)
.LBB6_1163:
	s_or_b64 exec, exec, s[14:15]
	s_branch .LBB6_1167
.LBB6_1164:                             ;   in Loop: Header=BB6_1167 Depth=1
	s_or_b64 exec, exec, s[14:15]
	v_readfirstlane_b32 s14, v0
	s_cmp_eq_u32 s14, 0
	s_cbranch_scc1 .LBB6_1166
; %bb.1165:                             ;   in Loop: Header=BB6_1167 Depth=1
	s_sleep 1
	s_cbranch_execnz .LBB6_1167
	s_branch .LBB6_1169
.LBB6_1166:
	s_branch .LBB6_1169
.LBB6_1167:                             ; =>This Inner Loop Header: Depth=1
	v_mov_b32_e32 v0, 1
	s_and_saveexec_b64 s[14:15], s[4:5]
	s_cbranch_execz .LBB6_1164
; %bb.1168:                             ;   in Loop: Header=BB6_1167 Depth=1
	global_load_dword v0, v[10:11], off offset:20 glc
	s_waitcnt vmcnt(0)
	buffer_wbinvl1_vol
	v_and_b32_e32 v0, 1, v0
	s_branch .LBB6_1164
.LBB6_1169:
	s_and_saveexec_b64 s[14:15], s[4:5]
	s_cbranch_execz .LBB6_1172
; %bb.1170:
	v_mov_b32_e32 v6, 0
	global_load_dwordx2 v[2:3], v6, s[6:7] offset:40
	global_load_dwordx2 v[7:8], v6, s[6:7] offset:24 glc
	global_load_dwordx2 v[4:5], v6, s[6:7]
	v_mov_b32_e32 v1, s13
	s_mov_b64 s[4:5], 0
	s_waitcnt vmcnt(2)
	v_add_co_u32_e32 v9, vcc, 1, v2
	v_addc_co_u32_e32 v10, vcc, 0, v3, vcc
	v_add_co_u32_e32 v0, vcc, s12, v9
	v_addc_co_u32_e32 v1, vcc, v10, v1, vcc
	v_cmp_eq_u64_e32 vcc, 0, v[0:1]
	v_cndmask_b32_e32 v1, v1, v10, vcc
	v_cndmask_b32_e32 v0, v0, v9, vcc
	v_and_b32_e32 v3, v1, v3
	v_and_b32_e32 v2, v0, v2
	v_mul_lo_u32 v3, v3, 24
	v_mul_hi_u32 v9, v2, 24
	v_mul_lo_u32 v10, v2, 24
	s_waitcnt vmcnt(1)
	v_mov_b32_e32 v2, v7
	v_add_u32_e32 v3, v9, v3
	s_waitcnt vmcnt(0)
	v_add_co_u32_e32 v4, vcc, v4, v10
	v_addc_co_u32_e32 v5, vcc, v5, v3, vcc
	global_store_dwordx2 v[4:5], v[7:8], off
	v_mov_b32_e32 v3, v8
	s_waitcnt vmcnt(0)
	global_atomic_cmpswap_x2 v[2:3], v6, v[0:3], s[6:7] offset:24 glc
	s_waitcnt vmcnt(0)
	v_cmp_ne_u64_e32 vcc, v[2:3], v[7:8]
	s_and_b64 exec, exec, vcc
	s_cbranch_execz .LBB6_1172
.LBB6_1171:                             ; =>This Inner Loop Header: Depth=1
	s_sleep 1
	global_store_dwordx2 v[4:5], v[2:3], off
	s_waitcnt vmcnt(0)
	global_atomic_cmpswap_x2 v[7:8], v6, v[0:3], s[6:7] offset:24 glc
	s_waitcnt vmcnt(0)
	v_cmp_eq_u64_e32 vcc, v[7:8], v[2:3]
	v_mov_b32_e32 v2, v7
	s_or_b64 s[4:5], vcc, s[4:5]
	v_mov_b32_e32 v3, v8
	s_andn2_b64 exec, exec, s[4:5]
	s_cbranch_execnz .LBB6_1171
.LBB6_1172:
	s_or_b64 exec, exec, s[14:15]
	v_readfirstlane_b32 s4, v32
	v_mov_b32_e32 v5, 0
	v_mov_b32_e32 v6, 0
	v_cmp_eq_u32_e64 s[4:5], s4, v32
	s_and_saveexec_b64 s[12:13], s[4:5]
	s_cbranch_execz .LBB6_1178
; %bb.1173:
	v_mov_b32_e32 v0, 0
	global_load_dwordx2 v[3:4], v0, s[6:7] offset:24 glc
	s_waitcnt vmcnt(0)
	buffer_wbinvl1_vol
	global_load_dwordx2 v[1:2], v0, s[6:7] offset:40
	global_load_dwordx2 v[5:6], v0, s[6:7]
	s_waitcnt vmcnt(1)
	v_and_b32_e32 v1, v1, v3
	v_and_b32_e32 v2, v2, v4
	v_mul_lo_u32 v2, v2, 24
	v_mul_hi_u32 v7, v1, 24
	v_mul_lo_u32 v1, v1, 24
	v_add_u32_e32 v2, v7, v2
	s_waitcnt vmcnt(0)
	v_add_co_u32_e32 v1, vcc, v5, v1
	v_addc_co_u32_e32 v2, vcc, v6, v2, vcc
	global_load_dwordx2 v[1:2], v[1:2], off glc
	s_waitcnt vmcnt(0)
	global_atomic_cmpswap_x2 v[5:6], v0, v[1:4], s[6:7] offset:24 glc
	s_waitcnt vmcnt(0)
	buffer_wbinvl1_vol
	v_cmp_ne_u64_e32 vcc, v[5:6], v[3:4]
	s_and_saveexec_b64 s[14:15], vcc
	s_cbranch_execz .LBB6_1177
; %bb.1174:
	s_mov_b64 s[16:17], 0
.LBB6_1175:                             ; =>This Inner Loop Header: Depth=1
	s_sleep 1
	global_load_dwordx2 v[1:2], v0, s[6:7] offset:40
	global_load_dwordx2 v[7:8], v0, s[6:7]
	v_mov_b32_e32 v3, v5
	v_mov_b32_e32 v4, v6
	s_waitcnt vmcnt(1)
	v_and_b32_e32 v1, v1, v3
	s_waitcnt vmcnt(0)
	v_mad_u64_u32 v[5:6], s[18:19], v1, 24, v[7:8]
	v_and_b32_e32 v2, v2, v4
	v_mov_b32_e32 v1, v6
	v_mad_u64_u32 v[1:2], s[18:19], v2, 24, v[1:2]
	v_mov_b32_e32 v6, v1
	global_load_dwordx2 v[1:2], v[5:6], off glc
	s_waitcnt vmcnt(0)
	global_atomic_cmpswap_x2 v[5:6], v0, v[1:4], s[6:7] offset:24 glc
	s_waitcnt vmcnt(0)
	buffer_wbinvl1_vol
	v_cmp_eq_u64_e32 vcc, v[5:6], v[3:4]
	s_or_b64 s[16:17], vcc, s[16:17]
	s_andn2_b64 exec, exec, s[16:17]
	s_cbranch_execnz .LBB6_1175
; %bb.1176:
	s_or_b64 exec, exec, s[16:17]
.LBB6_1177:
	s_or_b64 exec, exec, s[14:15]
.LBB6_1178:
	s_or_b64 exec, exec, s[12:13]
	v_mov_b32_e32 v4, 0
	global_load_dwordx2 v[7:8], v4, s[6:7] offset:40
	global_load_dwordx4 v[0:3], v4, s[6:7]
	v_readfirstlane_b32 s12, v5
	v_readfirstlane_b32 s13, v6
	s_mov_b64 s[14:15], exec
	s_waitcnt vmcnt(1)
	v_readfirstlane_b32 s16, v7
	v_readfirstlane_b32 s17, v8
	s_and_b64 s[16:17], s[12:13], s[16:17]
	s_mul_i32 s18, s17, 24
	s_mul_hi_u32 s19, s16, 24
	s_mul_i32 s20, s16, 24
	s_add_i32 s18, s19, s18
	v_mov_b32_e32 v5, s18
	s_waitcnt vmcnt(0)
	v_add_co_u32_e32 v7, vcc, s20, v0
	v_addc_co_u32_e32 v8, vcc, v1, v5, vcc
	s_and_saveexec_b64 s[18:19], s[4:5]
	s_cbranch_execz .LBB6_1180
; %bb.1179:
	v_mov_b32_e32 v9, s14
	v_mov_b32_e32 v10, s15
	;; [unrolled: 1-line block ×4, first 2 shown]
	global_store_dwordx4 v[7:8], v[9:12], off offset:8
.LBB6_1180:
	s_or_b64 exec, exec, s[18:19]
	s_lshl_b64 s[14:15], s[16:17], 12
	v_mov_b32_e32 v5, s15
	v_add_co_u32_e32 v2, vcc, s14, v2
	v_addc_co_u32_e32 v11, vcc, v3, v5, vcc
	s_mov_b32 s16, 0
	v_mov_b32_e32 v3, 33
	v_mov_b32_e32 v5, v4
	v_mov_b32_e32 v6, v4
	v_readfirstlane_b32 s14, v2
	v_readfirstlane_b32 s15, v11
	v_add_co_u32_e32 v9, vcc, v2, v31
	s_mov_b32 s17, s16
	s_mov_b32 s18, s16
	;; [unrolled: 1-line block ×3, first 2 shown]
	s_nop 0
	global_store_dwordx4 v31, v[3:6], s[14:15]
	v_mov_b32_e32 v2, s16
	v_addc_co_u32_e32 v10, vcc, 0, v11, vcc
	v_mov_b32_e32 v3, s17
	v_mov_b32_e32 v4, s18
	;; [unrolled: 1-line block ×3, first 2 shown]
	global_store_dwordx4 v31, v[2:5], s[14:15] offset:16
	global_store_dwordx4 v31, v[2:5], s[14:15] offset:32
	global_store_dwordx4 v31, v[2:5], s[14:15] offset:48
	s_and_saveexec_b64 s[14:15], s[4:5]
	s_cbranch_execz .LBB6_1188
; %bb.1181:
	v_mov_b32_e32 v6, 0
	global_load_dwordx2 v[13:14], v6, s[6:7] offset:32 glc
	global_load_dwordx2 v[2:3], v6, s[6:7] offset:40
	v_mov_b32_e32 v11, s12
	v_mov_b32_e32 v12, s13
	s_waitcnt vmcnt(0)
	v_readfirstlane_b32 s16, v2
	v_readfirstlane_b32 s17, v3
	s_and_b64 s[16:17], s[16:17], s[12:13]
	s_mul_i32 s17, s17, 24
	s_mul_hi_u32 s18, s16, 24
	s_mul_i32 s16, s16, 24
	s_add_i32 s17, s18, s17
	v_mov_b32_e32 v2, s17
	v_add_co_u32_e32 v4, vcc, s16, v0
	v_addc_co_u32_e32 v5, vcc, v1, v2, vcc
	global_store_dwordx2 v[4:5], v[13:14], off
	s_waitcnt vmcnt(0)
	global_atomic_cmpswap_x2 v[2:3], v6, v[11:14], s[6:7] offset:32 glc
	s_waitcnt vmcnt(0)
	v_cmp_ne_u64_e32 vcc, v[2:3], v[13:14]
	s_and_saveexec_b64 s[16:17], vcc
	s_cbranch_execz .LBB6_1184
; %bb.1182:
	s_mov_b64 s[18:19], 0
.LBB6_1183:                             ; =>This Inner Loop Header: Depth=1
	s_sleep 1
	global_store_dwordx2 v[4:5], v[2:3], off
	v_mov_b32_e32 v0, s12
	v_mov_b32_e32 v1, s13
	s_waitcnt vmcnt(0)
	global_atomic_cmpswap_x2 v[0:1], v6, v[0:3], s[6:7] offset:32 glc
	s_waitcnt vmcnt(0)
	v_cmp_eq_u64_e32 vcc, v[0:1], v[2:3]
	v_mov_b32_e32 v3, v1
	s_or_b64 s[18:19], vcc, s[18:19]
	v_mov_b32_e32 v2, v0
	s_andn2_b64 exec, exec, s[18:19]
	s_cbranch_execnz .LBB6_1183
.LBB6_1184:
	s_or_b64 exec, exec, s[16:17]
	v_mov_b32_e32 v3, 0
	global_load_dwordx2 v[0:1], v3, s[6:7] offset:16
	s_mov_b64 s[16:17], exec
	v_mbcnt_lo_u32_b32 v2, s16, 0
	v_mbcnt_hi_u32_b32 v2, s17, v2
	v_cmp_eq_u32_e32 vcc, 0, v2
	s_and_saveexec_b64 s[18:19], vcc
	s_cbranch_execz .LBB6_1186
; %bb.1185:
	s_bcnt1_i32_b64 s16, s[16:17]
	v_mov_b32_e32 v2, s16
	s_waitcnt vmcnt(0)
	global_atomic_add_x2 v[0:1], v[2:3], off offset:8
.LBB6_1186:
	s_or_b64 exec, exec, s[18:19]
	s_waitcnt vmcnt(0)
	global_load_dwordx2 v[2:3], v[0:1], off offset:16
	s_waitcnt vmcnt(0)
	v_cmp_eq_u64_e32 vcc, 0, v[2:3]
	s_cbranch_vccnz .LBB6_1188
; %bb.1187:
	global_load_dword v0, v[0:1], off offset:24
	v_mov_b32_e32 v1, 0
	s_waitcnt vmcnt(0)
	global_store_dwordx2 v[2:3], v[0:1], off
	v_and_b32_e32 v0, 0xffffff, v0
	v_readfirstlane_b32 m0, v0
	s_sendmsg sendmsg(MSG_INTERRUPT)
.LBB6_1188:
	s_or_b64 exec, exec, s[14:15]
	s_branch .LBB6_1192
.LBB6_1189:                             ;   in Loop: Header=BB6_1192 Depth=1
	s_or_b64 exec, exec, s[14:15]
	v_readfirstlane_b32 s14, v0
	s_cmp_eq_u32 s14, 0
	s_cbranch_scc1 .LBB6_1191
; %bb.1190:                             ;   in Loop: Header=BB6_1192 Depth=1
	s_sleep 1
	s_cbranch_execnz .LBB6_1192
	s_branch .LBB6_1194
.LBB6_1191:
	s_branch .LBB6_1194
.LBB6_1192:                             ; =>This Inner Loop Header: Depth=1
	v_mov_b32_e32 v0, 1
	s_and_saveexec_b64 s[14:15], s[4:5]
	s_cbranch_execz .LBB6_1189
; %bb.1193:                             ;   in Loop: Header=BB6_1192 Depth=1
	global_load_dword v0, v[7:8], off offset:20 glc
	s_waitcnt vmcnt(0)
	buffer_wbinvl1_vol
	v_and_b32_e32 v0, 1, v0
	s_branch .LBB6_1189
.LBB6_1194:
	global_load_dwordx2 v[0:1], v[9:10], off
	s_and_saveexec_b64 s[14:15], s[4:5]
	s_cbranch_execz .LBB6_1197
; %bb.1195:
	v_mov_b32_e32 v8, 0
	global_load_dwordx2 v[4:5], v8, s[6:7] offset:40
	global_load_dwordx2 v[9:10], v8, s[6:7] offset:24 glc
	global_load_dwordx2 v[6:7], v8, s[6:7]
	v_mov_b32_e32 v3, s13
	s_mov_b64 s[4:5], 0
	s_waitcnt vmcnt(2)
	v_add_co_u32_e32 v11, vcc, 1, v4
	v_addc_co_u32_e32 v12, vcc, 0, v5, vcc
	v_add_co_u32_e32 v2, vcc, s12, v11
	v_addc_co_u32_e32 v3, vcc, v12, v3, vcc
	v_cmp_eq_u64_e32 vcc, 0, v[2:3]
	v_cndmask_b32_e32 v3, v3, v12, vcc
	v_cndmask_b32_e32 v2, v2, v11, vcc
	v_and_b32_e32 v5, v3, v5
	v_and_b32_e32 v4, v2, v4
	v_mul_lo_u32 v5, v5, 24
	v_mul_hi_u32 v11, v4, 24
	v_mul_lo_u32 v12, v4, 24
	s_waitcnt vmcnt(1)
	v_mov_b32_e32 v4, v9
	v_add_u32_e32 v5, v11, v5
	s_waitcnt vmcnt(0)
	v_add_co_u32_e32 v6, vcc, v6, v12
	v_addc_co_u32_e32 v7, vcc, v7, v5, vcc
	global_store_dwordx2 v[6:7], v[9:10], off
	v_mov_b32_e32 v5, v10
	s_waitcnt vmcnt(0)
	global_atomic_cmpswap_x2 v[4:5], v8, v[2:5], s[6:7] offset:24 glc
	s_waitcnt vmcnt(0)
	v_cmp_ne_u64_e32 vcc, v[4:5], v[9:10]
	s_and_b64 exec, exec, vcc
	s_cbranch_execz .LBB6_1197
.LBB6_1196:                             ; =>This Inner Loop Header: Depth=1
	s_sleep 1
	global_store_dwordx2 v[6:7], v[4:5], off
	s_waitcnt vmcnt(0)
	global_atomic_cmpswap_x2 v[9:10], v8, v[2:5], s[6:7] offset:24 glc
	s_waitcnt vmcnt(0)
	v_cmp_eq_u64_e32 vcc, v[9:10], v[4:5]
	v_mov_b32_e32 v4, v9
	s_or_b64 s[4:5], vcc, s[4:5]
	v_mov_b32_e32 v5, v10
	s_andn2_b64 exec, exec, s[4:5]
	s_cbranch_execnz .LBB6_1196
.LBB6_1197:
	s_or_b64 exec, exec, s[14:15]
	s_and_b64 vcc, exec, s[10:11]
	s_cbranch_vccz .LBB6_1282
; %bb.1198:
	s_waitcnt vmcnt(0)
	v_and_b32_e32 v33, 2, v0
	v_mov_b32_e32 v28, 0
	v_and_b32_e32 v2, -3, v0
	v_mov_b32_e32 v3, v1
	s_mov_b64 s[12:13], 3
	v_mov_b32_e32 v6, 2
	v_mov_b32_e32 v7, 1
	s_getpc_b64 s[10:11]
	s_add_u32 s10, s10, .str.6@rel32@lo+4
	s_addc_u32 s11, s11, .str.6@rel32@hi+12
	s_branch .LBB6_1200
.LBB6_1199:                             ;   in Loop: Header=BB6_1200 Depth=1
	s_or_b64 exec, exec, s[18:19]
	s_sub_u32 s12, s12, s14
	s_subb_u32 s13, s13, s15
	s_add_u32 s10, s10, s14
	s_addc_u32 s11, s11, s15
	s_cmp_lg_u64 s[12:13], 0
	s_cbranch_scc0 .LBB6_1281
.LBB6_1200:                             ; =>This Loop Header: Depth=1
                                        ;     Child Loop BB6_1203 Depth 2
                                        ;     Child Loop BB6_1210 Depth 2
	;; [unrolled: 1-line block ×11, first 2 shown]
	v_cmp_lt_u64_e64 s[4:5], s[12:13], 56
	v_cmp_gt_u64_e64 s[16:17], s[12:13], 7
	s_and_b64 s[4:5], s[4:5], exec
	s_cselect_b32 s15, s13, 0
	s_cselect_b32 s14, s12, 56
	s_and_b64 vcc, exec, s[16:17]
	s_cbranch_vccnz .LBB6_1205
; %bb.1201:                             ;   in Loop: Header=BB6_1200 Depth=1
	v_mov_b32_e32 v10, 0
	s_cmp_eq_u64 s[12:13], 0
	v_mov_b32_e32 v11, 0
	s_mov_b64 s[4:5], 0
	s_cbranch_scc1 .LBB6_1204
; %bb.1202:                             ;   in Loop: Header=BB6_1200 Depth=1
	v_mov_b32_e32 v10, 0
	s_lshl_b64 s[16:17], s[14:15], 3
	s_mov_b64 s[18:19], 0
	v_mov_b32_e32 v11, 0
	s_mov_b64 s[20:21], s[10:11]
.LBB6_1203:                             ;   Parent Loop BB6_1200 Depth=1
                                        ; =>  This Inner Loop Header: Depth=2
	global_load_ubyte v4, v28, s[20:21]
	s_waitcnt vmcnt(0)
	v_and_b32_e32 v27, 0xffff, v4
	v_lshlrev_b64 v[4:5], s18, v[27:28]
	s_add_u32 s18, s18, 8
	s_addc_u32 s19, s19, 0
	s_add_u32 s20, s20, 1
	s_addc_u32 s21, s21, 0
	v_or_b32_e32 v10, v4, v10
	s_cmp_lg_u32 s16, s18
	v_or_b32_e32 v11, v5, v11
	s_cbranch_scc1 .LBB6_1203
.LBB6_1204:                             ;   in Loop: Header=BB6_1200 Depth=1
	s_mov_b32 s20, 0
	s_andn2_b64 vcc, exec, s[4:5]
	s_mov_b64 s[4:5], s[10:11]
	s_cbranch_vccz .LBB6_1206
	s_branch .LBB6_1207
.LBB6_1205:                             ;   in Loop: Header=BB6_1200 Depth=1
                                        ; implicit-def: $vgpr10_vgpr11
                                        ; implicit-def: $sgpr20
	s_mov_b64 s[4:5], s[10:11]
.LBB6_1206:                             ;   in Loop: Header=BB6_1200 Depth=1
	global_load_dwordx2 v[10:11], v28, s[10:11]
	s_add_i32 s20, s14, -8
	s_add_u32 s4, s10, 8
	s_addc_u32 s5, s11, 0
.LBB6_1207:                             ;   in Loop: Header=BB6_1200 Depth=1
	s_cmp_gt_u32 s20, 7
	s_cbranch_scc1 .LBB6_1211
; %bb.1208:                             ;   in Loop: Header=BB6_1200 Depth=1
	s_cmp_eq_u32 s20, 0
	s_cbranch_scc1 .LBB6_1212
; %bb.1209:                             ;   in Loop: Header=BB6_1200 Depth=1
	v_mov_b32_e32 v12, 0
	s_mov_b64 s[16:17], 0
	v_mov_b32_e32 v13, 0
	s_mov_b64 s[18:19], 0
.LBB6_1210:                             ;   Parent Loop BB6_1200 Depth=1
                                        ; =>  This Inner Loop Header: Depth=2
	s_add_u32 s22, s4, s18
	s_addc_u32 s23, s5, s19
	global_load_ubyte v4, v28, s[22:23]
	s_add_u32 s18, s18, 1
	s_addc_u32 s19, s19, 0
	s_waitcnt vmcnt(0)
	v_and_b32_e32 v27, 0xffff, v4
	v_lshlrev_b64 v[4:5], s16, v[27:28]
	s_add_u32 s16, s16, 8
	s_addc_u32 s17, s17, 0
	v_or_b32_e32 v12, v4, v12
	s_cmp_lg_u32 s20, s18
	v_or_b32_e32 v13, v5, v13
	s_cbranch_scc1 .LBB6_1210
	s_branch .LBB6_1213
.LBB6_1211:                             ;   in Loop: Header=BB6_1200 Depth=1
                                        ; implicit-def: $vgpr12_vgpr13
                                        ; implicit-def: $sgpr21
	s_branch .LBB6_1214
.LBB6_1212:                             ;   in Loop: Header=BB6_1200 Depth=1
	v_mov_b32_e32 v12, 0
	v_mov_b32_e32 v13, 0
.LBB6_1213:                             ;   in Loop: Header=BB6_1200 Depth=1
	s_mov_b32 s21, 0
	s_cbranch_execnz .LBB6_1215
.LBB6_1214:                             ;   in Loop: Header=BB6_1200 Depth=1
	global_load_dwordx2 v[12:13], v28, s[4:5]
	s_add_i32 s21, s20, -8
	s_add_u32 s4, s4, 8
	s_addc_u32 s5, s5, 0
.LBB6_1215:                             ;   in Loop: Header=BB6_1200 Depth=1
	s_cmp_gt_u32 s21, 7
	s_cbranch_scc1 .LBB6_1219
; %bb.1216:                             ;   in Loop: Header=BB6_1200 Depth=1
	s_cmp_eq_u32 s21, 0
	s_cbranch_scc1 .LBB6_1220
; %bb.1217:                             ;   in Loop: Header=BB6_1200 Depth=1
	v_mov_b32_e32 v14, 0
	s_mov_b64 s[16:17], 0
	v_mov_b32_e32 v15, 0
	s_mov_b64 s[18:19], 0
.LBB6_1218:                             ;   Parent Loop BB6_1200 Depth=1
                                        ; =>  This Inner Loop Header: Depth=2
	s_add_u32 s22, s4, s18
	s_addc_u32 s23, s5, s19
	global_load_ubyte v4, v28, s[22:23]
	s_add_u32 s18, s18, 1
	s_addc_u32 s19, s19, 0
	s_waitcnt vmcnt(0)
	v_and_b32_e32 v27, 0xffff, v4
	v_lshlrev_b64 v[4:5], s16, v[27:28]
	s_add_u32 s16, s16, 8
	s_addc_u32 s17, s17, 0
	v_or_b32_e32 v14, v4, v14
	s_cmp_lg_u32 s21, s18
	v_or_b32_e32 v15, v5, v15
	s_cbranch_scc1 .LBB6_1218
	s_branch .LBB6_1221
.LBB6_1219:                             ;   in Loop: Header=BB6_1200 Depth=1
                                        ; implicit-def: $sgpr20
	s_branch .LBB6_1222
.LBB6_1220:                             ;   in Loop: Header=BB6_1200 Depth=1
	v_mov_b32_e32 v14, 0
	v_mov_b32_e32 v15, 0
.LBB6_1221:                             ;   in Loop: Header=BB6_1200 Depth=1
	s_mov_b32 s20, 0
	s_cbranch_execnz .LBB6_1223
.LBB6_1222:                             ;   in Loop: Header=BB6_1200 Depth=1
	global_load_dwordx2 v[14:15], v28, s[4:5]
	s_add_i32 s20, s21, -8
	s_add_u32 s4, s4, 8
	s_addc_u32 s5, s5, 0
.LBB6_1223:                             ;   in Loop: Header=BB6_1200 Depth=1
	s_cmp_gt_u32 s20, 7
	s_cbranch_scc1 .LBB6_1227
; %bb.1224:                             ;   in Loop: Header=BB6_1200 Depth=1
	s_cmp_eq_u32 s20, 0
	s_cbranch_scc1 .LBB6_1228
; %bb.1225:                             ;   in Loop: Header=BB6_1200 Depth=1
	v_mov_b32_e32 v16, 0
	s_mov_b64 s[16:17], 0
	v_mov_b32_e32 v17, 0
	s_mov_b64 s[18:19], 0
.LBB6_1226:                             ;   Parent Loop BB6_1200 Depth=1
                                        ; =>  This Inner Loop Header: Depth=2
	s_add_u32 s22, s4, s18
	s_addc_u32 s23, s5, s19
	global_load_ubyte v4, v28, s[22:23]
	s_add_u32 s18, s18, 1
	s_addc_u32 s19, s19, 0
	s_waitcnt vmcnt(0)
	v_and_b32_e32 v27, 0xffff, v4
	v_lshlrev_b64 v[4:5], s16, v[27:28]
	s_add_u32 s16, s16, 8
	s_addc_u32 s17, s17, 0
	v_or_b32_e32 v16, v4, v16
	s_cmp_lg_u32 s20, s18
	v_or_b32_e32 v17, v5, v17
	s_cbranch_scc1 .LBB6_1226
	s_branch .LBB6_1229
.LBB6_1227:                             ;   in Loop: Header=BB6_1200 Depth=1
                                        ; implicit-def: $vgpr16_vgpr17
                                        ; implicit-def: $sgpr21
	s_branch .LBB6_1230
.LBB6_1228:                             ;   in Loop: Header=BB6_1200 Depth=1
	v_mov_b32_e32 v16, 0
	v_mov_b32_e32 v17, 0
.LBB6_1229:                             ;   in Loop: Header=BB6_1200 Depth=1
	s_mov_b32 s21, 0
	s_cbranch_execnz .LBB6_1231
.LBB6_1230:                             ;   in Loop: Header=BB6_1200 Depth=1
	global_load_dwordx2 v[16:17], v28, s[4:5]
	s_add_i32 s21, s20, -8
	s_add_u32 s4, s4, 8
	s_addc_u32 s5, s5, 0
.LBB6_1231:                             ;   in Loop: Header=BB6_1200 Depth=1
	s_cmp_gt_u32 s21, 7
	s_cbranch_scc1 .LBB6_1235
; %bb.1232:                             ;   in Loop: Header=BB6_1200 Depth=1
	s_cmp_eq_u32 s21, 0
	s_cbranch_scc1 .LBB6_1236
; %bb.1233:                             ;   in Loop: Header=BB6_1200 Depth=1
	v_mov_b32_e32 v18, 0
	s_mov_b64 s[16:17], 0
	v_mov_b32_e32 v19, 0
	s_mov_b64 s[18:19], 0
.LBB6_1234:                             ;   Parent Loop BB6_1200 Depth=1
                                        ; =>  This Inner Loop Header: Depth=2
	s_add_u32 s22, s4, s18
	s_addc_u32 s23, s5, s19
	global_load_ubyte v4, v28, s[22:23]
	s_add_u32 s18, s18, 1
	s_addc_u32 s19, s19, 0
	s_waitcnt vmcnt(0)
	v_and_b32_e32 v27, 0xffff, v4
	v_lshlrev_b64 v[4:5], s16, v[27:28]
	s_add_u32 s16, s16, 8
	s_addc_u32 s17, s17, 0
	v_or_b32_e32 v18, v4, v18
	s_cmp_lg_u32 s21, s18
	v_or_b32_e32 v19, v5, v19
	s_cbranch_scc1 .LBB6_1234
	s_branch .LBB6_1237
.LBB6_1235:                             ;   in Loop: Header=BB6_1200 Depth=1
                                        ; implicit-def: $sgpr20
	s_branch .LBB6_1238
.LBB6_1236:                             ;   in Loop: Header=BB6_1200 Depth=1
	v_mov_b32_e32 v18, 0
	v_mov_b32_e32 v19, 0
.LBB6_1237:                             ;   in Loop: Header=BB6_1200 Depth=1
	s_mov_b32 s20, 0
	s_cbranch_execnz .LBB6_1239
.LBB6_1238:                             ;   in Loop: Header=BB6_1200 Depth=1
	global_load_dwordx2 v[18:19], v28, s[4:5]
	s_add_i32 s20, s21, -8
	s_add_u32 s4, s4, 8
	s_addc_u32 s5, s5, 0
.LBB6_1239:                             ;   in Loop: Header=BB6_1200 Depth=1
	s_cmp_gt_u32 s20, 7
	s_cbranch_scc1 .LBB6_1243
; %bb.1240:                             ;   in Loop: Header=BB6_1200 Depth=1
	s_cmp_eq_u32 s20, 0
	s_cbranch_scc1 .LBB6_1244
; %bb.1241:                             ;   in Loop: Header=BB6_1200 Depth=1
	v_mov_b32_e32 v20, 0
	s_mov_b64 s[16:17], 0
	v_mov_b32_e32 v21, 0
	s_mov_b64 s[18:19], 0
.LBB6_1242:                             ;   Parent Loop BB6_1200 Depth=1
                                        ; =>  This Inner Loop Header: Depth=2
	s_add_u32 s22, s4, s18
	s_addc_u32 s23, s5, s19
	global_load_ubyte v4, v28, s[22:23]
	s_add_u32 s18, s18, 1
	s_addc_u32 s19, s19, 0
	s_waitcnt vmcnt(0)
	v_and_b32_e32 v27, 0xffff, v4
	v_lshlrev_b64 v[4:5], s16, v[27:28]
	s_add_u32 s16, s16, 8
	s_addc_u32 s17, s17, 0
	v_or_b32_e32 v20, v4, v20
	s_cmp_lg_u32 s20, s18
	v_or_b32_e32 v21, v5, v21
	s_cbranch_scc1 .LBB6_1242
	s_branch .LBB6_1245
.LBB6_1243:                             ;   in Loop: Header=BB6_1200 Depth=1
                                        ; implicit-def: $vgpr20_vgpr21
                                        ; implicit-def: $sgpr21
	s_branch .LBB6_1246
.LBB6_1244:                             ;   in Loop: Header=BB6_1200 Depth=1
	v_mov_b32_e32 v20, 0
	v_mov_b32_e32 v21, 0
.LBB6_1245:                             ;   in Loop: Header=BB6_1200 Depth=1
	s_mov_b32 s21, 0
	s_cbranch_execnz .LBB6_1247
.LBB6_1246:                             ;   in Loop: Header=BB6_1200 Depth=1
	global_load_dwordx2 v[20:21], v28, s[4:5]
	s_add_i32 s21, s20, -8
	s_add_u32 s4, s4, 8
	s_addc_u32 s5, s5, 0
.LBB6_1247:                             ;   in Loop: Header=BB6_1200 Depth=1
	s_cmp_gt_u32 s21, 7
	s_cbranch_scc1 .LBB6_1251
; %bb.1248:                             ;   in Loop: Header=BB6_1200 Depth=1
	s_cmp_eq_u32 s21, 0
	s_cbranch_scc1 .LBB6_1252
; %bb.1249:                             ;   in Loop: Header=BB6_1200 Depth=1
	v_mov_b32_e32 v22, 0
	s_mov_b64 s[16:17], 0
	v_mov_b32_e32 v23, 0
	s_mov_b64 s[18:19], s[4:5]
.LBB6_1250:                             ;   Parent Loop BB6_1200 Depth=1
                                        ; =>  This Inner Loop Header: Depth=2
	global_load_ubyte v4, v28, s[18:19]
	s_add_i32 s21, s21, -1
	s_waitcnt vmcnt(0)
	v_and_b32_e32 v27, 0xffff, v4
	v_lshlrev_b64 v[4:5], s16, v[27:28]
	s_add_u32 s16, s16, 8
	s_addc_u32 s17, s17, 0
	s_add_u32 s18, s18, 1
	s_addc_u32 s19, s19, 0
	v_or_b32_e32 v22, v4, v22
	s_cmp_lg_u32 s21, 0
	v_or_b32_e32 v23, v5, v23
	s_cbranch_scc1 .LBB6_1250
	s_branch .LBB6_1253
.LBB6_1251:                             ;   in Loop: Header=BB6_1200 Depth=1
	s_branch .LBB6_1254
.LBB6_1252:                             ;   in Loop: Header=BB6_1200 Depth=1
	v_mov_b32_e32 v22, 0
	v_mov_b32_e32 v23, 0
.LBB6_1253:                             ;   in Loop: Header=BB6_1200 Depth=1
	s_cbranch_execnz .LBB6_1255
.LBB6_1254:                             ;   in Loop: Header=BB6_1200 Depth=1
	global_load_dwordx2 v[22:23], v28, s[4:5]
.LBB6_1255:                             ;   in Loop: Header=BB6_1200 Depth=1
	v_readfirstlane_b32 s4, v32
	s_waitcnt vmcnt(0)
	v_mov_b32_e32 v4, 0
	v_mov_b32_e32 v5, 0
	v_cmp_eq_u32_e64 s[4:5], s4, v32
	s_and_saveexec_b64 s[16:17], s[4:5]
	s_cbranch_execz .LBB6_1261
; %bb.1256:                             ;   in Loop: Header=BB6_1200 Depth=1
	global_load_dwordx2 v[26:27], v28, s[6:7] offset:24 glc
	s_waitcnt vmcnt(0)
	buffer_wbinvl1_vol
	global_load_dwordx2 v[4:5], v28, s[6:7] offset:40
	global_load_dwordx2 v[8:9], v28, s[6:7]
	s_waitcnt vmcnt(1)
	v_and_b32_e32 v4, v4, v26
	v_and_b32_e32 v5, v5, v27
	v_mul_lo_u32 v5, v5, 24
	v_mul_hi_u32 v24, v4, 24
	v_mul_lo_u32 v4, v4, 24
	v_add_u32_e32 v5, v24, v5
	s_waitcnt vmcnt(0)
	v_add_co_u32_e32 v4, vcc, v8, v4
	v_addc_co_u32_e32 v5, vcc, v9, v5, vcc
	global_load_dwordx2 v[24:25], v[4:5], off glc
	s_waitcnt vmcnt(0)
	global_atomic_cmpswap_x2 v[4:5], v28, v[24:27], s[6:7] offset:24 glc
	s_waitcnt vmcnt(0)
	buffer_wbinvl1_vol
	v_cmp_ne_u64_e32 vcc, v[4:5], v[26:27]
	s_and_saveexec_b64 s[18:19], vcc
	s_cbranch_execz .LBB6_1260
; %bb.1257:                             ;   in Loop: Header=BB6_1200 Depth=1
	s_mov_b64 s[20:21], 0
.LBB6_1258:                             ;   Parent Loop BB6_1200 Depth=1
                                        ; =>  This Inner Loop Header: Depth=2
	s_sleep 1
	global_load_dwordx2 v[8:9], v28, s[6:7] offset:40
	global_load_dwordx2 v[24:25], v28, s[6:7]
	v_mov_b32_e32 v27, v5
	v_mov_b32_e32 v26, v4
	s_waitcnt vmcnt(1)
	v_and_b32_e32 v4, v8, v26
	s_waitcnt vmcnt(0)
	v_mad_u64_u32 v[4:5], s[22:23], v4, 24, v[24:25]
	v_and_b32_e32 v8, v9, v27
	v_mad_u64_u32 v[8:9], s[22:23], v8, 24, v[5:6]
	v_mov_b32_e32 v5, v8
	global_load_dwordx2 v[24:25], v[4:5], off glc
	s_waitcnt vmcnt(0)
	global_atomic_cmpswap_x2 v[4:5], v28, v[24:27], s[6:7] offset:24 glc
	s_waitcnt vmcnt(0)
	buffer_wbinvl1_vol
	v_cmp_eq_u64_e32 vcc, v[4:5], v[26:27]
	s_or_b64 s[20:21], vcc, s[20:21]
	s_andn2_b64 exec, exec, s[20:21]
	s_cbranch_execnz .LBB6_1258
; %bb.1259:                             ;   in Loop: Header=BB6_1200 Depth=1
	s_or_b64 exec, exec, s[20:21]
.LBB6_1260:                             ;   in Loop: Header=BB6_1200 Depth=1
	s_or_b64 exec, exec, s[18:19]
.LBB6_1261:                             ;   in Loop: Header=BB6_1200 Depth=1
	s_or_b64 exec, exec, s[16:17]
	global_load_dwordx2 v[8:9], v28, s[6:7] offset:40
	global_load_dwordx4 v[24:27], v28, s[6:7]
	v_readfirstlane_b32 s16, v4
	v_readfirstlane_b32 s17, v5
	s_mov_b64 s[20:21], exec
	s_waitcnt vmcnt(1)
	v_readfirstlane_b32 s18, v8
	v_readfirstlane_b32 s19, v9
	s_and_b64 s[18:19], s[16:17], s[18:19]
	s_mul_i32 s22, s19, 24
	s_mul_hi_u32 s23, s18, 24
	s_mul_i32 s24, s18, 24
	s_add_i32 s22, s23, s22
	v_mov_b32_e32 v4, s22
	s_waitcnt vmcnt(0)
	v_add_co_u32_e32 v29, vcc, s24, v24
	v_addc_co_u32_e32 v30, vcc, v25, v4, vcc
	s_and_saveexec_b64 s[22:23], s[4:5]
	s_cbranch_execz .LBB6_1263
; %bb.1262:                             ;   in Loop: Header=BB6_1200 Depth=1
	v_mov_b32_e32 v4, s20
	v_mov_b32_e32 v5, s21
	global_store_dwordx4 v[29:30], v[4:7], off offset:8
.LBB6_1263:                             ;   in Loop: Header=BB6_1200 Depth=1
	s_or_b64 exec, exec, s[22:23]
	v_cmp_gt_u64_e64 vcc, s[12:13], 56
	v_or_b32_e32 v4, 0, v3
	v_cndmask_b32_e32 v9, v4, v3, vcc
	v_or_b32_e32 v3, v2, v33
	s_lshl_b32 s20, s14, 2
	v_cndmask_b32_e32 v2, v3, v2, vcc
	s_add_i32 s20, s20, 28
	s_and_b32 s20, s20, 0x1e0
	v_and_b32_e32 v2, 0xffffff1f, v2
	s_lshl_b64 s[18:19], s[18:19], 12
	v_or_b32_e32 v8, s20, v2
	v_mov_b32_e32 v2, s19
	v_add_co_u32_e32 v26, vcc, s18, v26
	v_addc_co_u32_e32 v34, vcc, v27, v2, vcc
	v_readfirstlane_b32 s18, v26
	v_readfirstlane_b32 s19, v34
	s_nop 4
	global_store_dwordx4 v31, v[8:11], s[18:19]
	global_store_dwordx4 v31, v[12:15], s[18:19] offset:16
	global_store_dwordx4 v31, v[16:19], s[18:19] offset:32
	global_store_dwordx4 v31, v[20:23], s[18:19] offset:48
	s_and_saveexec_b64 s[18:19], s[4:5]
	s_cbranch_execz .LBB6_1271
; %bb.1264:                             ;   in Loop: Header=BB6_1200 Depth=1
	global_load_dwordx2 v[12:13], v28, s[6:7] offset:32 glc
	global_load_dwordx2 v[2:3], v28, s[6:7] offset:40
	v_mov_b32_e32 v10, s16
	v_mov_b32_e32 v11, s17
	s_waitcnt vmcnt(0)
	v_readfirstlane_b32 s20, v2
	v_readfirstlane_b32 s21, v3
	s_and_b64 s[20:21], s[20:21], s[16:17]
	s_mul_i32 s21, s21, 24
	s_mul_hi_u32 s22, s20, 24
	s_mul_i32 s20, s20, 24
	s_add_i32 s21, s22, s21
	v_mov_b32_e32 v2, s21
	v_add_co_u32_e32 v8, vcc, s20, v24
	v_addc_co_u32_e32 v9, vcc, v25, v2, vcc
	global_store_dwordx2 v[8:9], v[12:13], off
	s_waitcnt vmcnt(0)
	global_atomic_cmpswap_x2 v[4:5], v28, v[10:13], s[6:7] offset:32 glc
	s_waitcnt vmcnt(0)
	v_cmp_ne_u64_e32 vcc, v[4:5], v[12:13]
	s_and_saveexec_b64 s[20:21], vcc
	s_cbranch_execz .LBB6_1267
; %bb.1265:                             ;   in Loop: Header=BB6_1200 Depth=1
	s_mov_b64 s[22:23], 0
.LBB6_1266:                             ;   Parent Loop BB6_1200 Depth=1
                                        ; =>  This Inner Loop Header: Depth=2
	s_sleep 1
	global_store_dwordx2 v[8:9], v[4:5], off
	v_mov_b32_e32 v2, s16
	v_mov_b32_e32 v3, s17
	s_waitcnt vmcnt(0)
	global_atomic_cmpswap_x2 v[2:3], v28, v[2:5], s[6:7] offset:32 glc
	s_waitcnt vmcnt(0)
	v_cmp_eq_u64_e32 vcc, v[2:3], v[4:5]
	v_mov_b32_e32 v5, v3
	s_or_b64 s[22:23], vcc, s[22:23]
	v_mov_b32_e32 v4, v2
	s_andn2_b64 exec, exec, s[22:23]
	s_cbranch_execnz .LBB6_1266
.LBB6_1267:                             ;   in Loop: Header=BB6_1200 Depth=1
	s_or_b64 exec, exec, s[20:21]
	global_load_dwordx2 v[2:3], v28, s[6:7] offset:16
	s_mov_b64 s[22:23], exec
	v_mbcnt_lo_u32_b32 v4, s22, 0
	v_mbcnt_hi_u32_b32 v4, s23, v4
	v_cmp_eq_u32_e32 vcc, 0, v4
	s_and_saveexec_b64 s[20:21], vcc
	s_cbranch_execz .LBB6_1269
; %bb.1268:                             ;   in Loop: Header=BB6_1200 Depth=1
	s_bcnt1_i32_b64 s22, s[22:23]
	v_mov_b32_e32 v27, s22
	s_waitcnt vmcnt(0)
	global_atomic_add_x2 v[2:3], v[27:28], off offset:8
.LBB6_1269:                             ;   in Loop: Header=BB6_1200 Depth=1
	s_or_b64 exec, exec, s[20:21]
	s_waitcnt vmcnt(0)
	global_load_dwordx2 v[4:5], v[2:3], off offset:16
	s_waitcnt vmcnt(0)
	v_cmp_eq_u64_e32 vcc, 0, v[4:5]
	s_cbranch_vccnz .LBB6_1271
; %bb.1270:                             ;   in Loop: Header=BB6_1200 Depth=1
	global_load_dword v27, v[2:3], off offset:24
	s_waitcnt vmcnt(0)
	v_and_b32_e32 v2, 0xffffff, v27
	v_readfirstlane_b32 m0, v2
	global_store_dwordx2 v[4:5], v[27:28], off
	s_sendmsg sendmsg(MSG_INTERRUPT)
.LBB6_1271:                             ;   in Loop: Header=BB6_1200 Depth=1
	s_or_b64 exec, exec, s[18:19]
	v_add_co_u32_e32 v2, vcc, v26, v31
	v_addc_co_u32_e32 v3, vcc, 0, v34, vcc
	s_branch .LBB6_1275
.LBB6_1272:                             ;   in Loop: Header=BB6_1275 Depth=2
	s_or_b64 exec, exec, s[18:19]
	v_readfirstlane_b32 s18, v4
	s_cmp_eq_u32 s18, 0
	s_cbranch_scc1 .LBB6_1274
; %bb.1273:                             ;   in Loop: Header=BB6_1275 Depth=2
	s_sleep 1
	s_cbranch_execnz .LBB6_1275
	s_branch .LBB6_1277
.LBB6_1274:                             ;   in Loop: Header=BB6_1200 Depth=1
	s_branch .LBB6_1277
.LBB6_1275:                             ;   Parent Loop BB6_1200 Depth=1
                                        ; =>  This Inner Loop Header: Depth=2
	v_mov_b32_e32 v4, 1
	s_and_saveexec_b64 s[18:19], s[4:5]
	s_cbranch_execz .LBB6_1272
; %bb.1276:                             ;   in Loop: Header=BB6_1275 Depth=2
	global_load_dword v4, v[29:30], off offset:20 glc
	s_waitcnt vmcnt(0)
	buffer_wbinvl1_vol
	v_and_b32_e32 v4, 1, v4
	s_branch .LBB6_1272
.LBB6_1277:                             ;   in Loop: Header=BB6_1200 Depth=1
	global_load_dwordx4 v[2:5], v[2:3], off
	s_and_saveexec_b64 s[18:19], s[4:5]
	s_cbranch_execz .LBB6_1199
; %bb.1278:                             ;   in Loop: Header=BB6_1200 Depth=1
	global_load_dwordx2 v[4:5], v28, s[6:7] offset:40
	global_load_dwordx2 v[12:13], v28, s[6:7] offset:24 glc
	global_load_dwordx2 v[14:15], v28, s[6:7]
	v_mov_b32_e32 v9, s17
	s_waitcnt vmcnt(2)
	v_add_co_u32_e32 v10, vcc, 1, v4
	v_addc_co_u32_e32 v11, vcc, 0, v5, vcc
	v_add_co_u32_e32 v8, vcc, s16, v10
	v_addc_co_u32_e32 v9, vcc, v11, v9, vcc
	v_cmp_eq_u64_e32 vcc, 0, v[8:9]
	v_cndmask_b32_e32 v9, v9, v11, vcc
	v_cndmask_b32_e32 v8, v8, v10, vcc
	v_and_b32_e32 v5, v9, v5
	v_and_b32_e32 v4, v8, v4
	v_mul_lo_u32 v5, v5, 24
	v_mul_hi_u32 v11, v4, 24
	v_mul_lo_u32 v4, v4, 24
	s_waitcnt vmcnt(1)
	v_mov_b32_e32 v10, v12
	v_add_u32_e32 v5, v11, v5
	s_waitcnt vmcnt(0)
	v_add_co_u32_e32 v4, vcc, v14, v4
	v_addc_co_u32_e32 v5, vcc, v15, v5, vcc
	global_store_dwordx2 v[4:5], v[12:13], off
	v_mov_b32_e32 v11, v13
	s_waitcnt vmcnt(0)
	global_atomic_cmpswap_x2 v[10:11], v28, v[8:11], s[6:7] offset:24 glc
	s_waitcnt vmcnt(0)
	v_cmp_ne_u64_e32 vcc, v[10:11], v[12:13]
	s_and_b64 exec, exec, vcc
	s_cbranch_execz .LBB6_1199
; %bb.1279:                             ;   in Loop: Header=BB6_1200 Depth=1
	s_mov_b64 s[4:5], 0
.LBB6_1280:                             ;   Parent Loop BB6_1200 Depth=1
                                        ; =>  This Inner Loop Header: Depth=2
	s_sleep 1
	global_store_dwordx2 v[4:5], v[10:11], off
	s_waitcnt vmcnt(0)
	global_atomic_cmpswap_x2 v[12:13], v28, v[8:11], s[6:7] offset:24 glc
	s_waitcnt vmcnt(0)
	v_cmp_eq_u64_e32 vcc, v[12:13], v[10:11]
	v_mov_b32_e32 v10, v12
	s_or_b64 s[4:5], vcc, s[4:5]
	v_mov_b32_e32 v11, v13
	s_andn2_b64 exec, exec, s[4:5]
	s_cbranch_execnz .LBB6_1280
	s_branch .LBB6_1199
.LBB6_1281:
	s_branch .LBB6_1309
.LBB6_1282:
                                        ; implicit-def: $vgpr2_vgpr3
	s_cbranch_execz .LBB6_1309
; %bb.1283:
	v_readfirstlane_b32 s4, v32
	v_mov_b32_e32 v8, 0
	v_mov_b32_e32 v9, 0
	v_cmp_eq_u32_e64 s[4:5], s4, v32
	s_and_saveexec_b64 s[10:11], s[4:5]
	s_cbranch_execz .LBB6_1289
; %bb.1284:
	s_waitcnt vmcnt(0)
	v_mov_b32_e32 v2, 0
	global_load_dwordx2 v[5:6], v2, s[6:7] offset:24 glc
	s_waitcnt vmcnt(0)
	buffer_wbinvl1_vol
	global_load_dwordx2 v[3:4], v2, s[6:7] offset:40
	global_load_dwordx2 v[7:8], v2, s[6:7]
	s_waitcnt vmcnt(1)
	v_and_b32_e32 v3, v3, v5
	v_and_b32_e32 v4, v4, v6
	v_mul_lo_u32 v4, v4, 24
	v_mul_hi_u32 v9, v3, 24
	v_mul_lo_u32 v3, v3, 24
	v_add_u32_e32 v4, v9, v4
	s_waitcnt vmcnt(0)
	v_add_co_u32_e32 v3, vcc, v7, v3
	v_addc_co_u32_e32 v4, vcc, v8, v4, vcc
	global_load_dwordx2 v[3:4], v[3:4], off glc
	s_waitcnt vmcnt(0)
	global_atomic_cmpswap_x2 v[8:9], v2, v[3:6], s[6:7] offset:24 glc
	s_waitcnt vmcnt(0)
	buffer_wbinvl1_vol
	v_cmp_ne_u64_e32 vcc, v[8:9], v[5:6]
	s_and_saveexec_b64 s[12:13], vcc
	s_cbranch_execz .LBB6_1288
; %bb.1285:
	s_mov_b64 s[14:15], 0
.LBB6_1286:                             ; =>This Inner Loop Header: Depth=1
	s_sleep 1
	global_load_dwordx2 v[3:4], v2, s[6:7] offset:40
	global_load_dwordx2 v[10:11], v2, s[6:7]
	v_mov_b32_e32 v5, v8
	v_mov_b32_e32 v6, v9
	s_waitcnt vmcnt(1)
	v_and_b32_e32 v3, v3, v5
	s_waitcnt vmcnt(0)
	v_mad_u64_u32 v[7:8], s[16:17], v3, 24, v[10:11]
	v_and_b32_e32 v4, v4, v6
	v_mov_b32_e32 v3, v8
	v_mad_u64_u32 v[3:4], s[16:17], v4, 24, v[3:4]
	v_mov_b32_e32 v8, v3
	global_load_dwordx2 v[3:4], v[7:8], off glc
	s_waitcnt vmcnt(0)
	global_atomic_cmpswap_x2 v[8:9], v2, v[3:6], s[6:7] offset:24 glc
	s_waitcnt vmcnt(0)
	buffer_wbinvl1_vol
	v_cmp_eq_u64_e32 vcc, v[8:9], v[5:6]
	s_or_b64 s[14:15], vcc, s[14:15]
	s_andn2_b64 exec, exec, s[14:15]
	s_cbranch_execnz .LBB6_1286
; %bb.1287:
	s_or_b64 exec, exec, s[14:15]
.LBB6_1288:
	s_or_b64 exec, exec, s[12:13]
.LBB6_1289:
	s_or_b64 exec, exec, s[10:11]
	s_waitcnt vmcnt(0)
	v_mov_b32_e32 v2, 0
	global_load_dwordx2 v[10:11], v2, s[6:7] offset:40
	global_load_dwordx4 v[4:7], v2, s[6:7]
	v_readfirstlane_b32 s10, v8
	v_readfirstlane_b32 s11, v9
	s_mov_b64 s[12:13], exec
	s_waitcnt vmcnt(1)
	v_readfirstlane_b32 s14, v10
	v_readfirstlane_b32 s15, v11
	s_and_b64 s[14:15], s[10:11], s[14:15]
	s_mul_i32 s16, s15, 24
	s_mul_hi_u32 s17, s14, 24
	s_mul_i32 s18, s14, 24
	s_add_i32 s16, s17, s16
	v_mov_b32_e32 v3, s16
	s_waitcnt vmcnt(0)
	v_add_co_u32_e32 v8, vcc, s18, v4
	v_addc_co_u32_e32 v9, vcc, v5, v3, vcc
	s_and_saveexec_b64 s[16:17], s[4:5]
	s_cbranch_execz .LBB6_1291
; %bb.1290:
	v_mov_b32_e32 v10, s12
	v_mov_b32_e32 v11, s13
	;; [unrolled: 1-line block ×4, first 2 shown]
	global_store_dwordx4 v[8:9], v[10:13], off offset:8
.LBB6_1291:
	s_or_b64 exec, exec, s[16:17]
	s_lshl_b64 s[12:13], s[14:15], 12
	v_mov_b32_e32 v3, s13
	v_add_co_u32_e32 v10, vcc, s12, v6
	v_addc_co_u32_e32 v11, vcc, v7, v3, vcc
	s_movk_i32 s12, 0xff1f
	v_and_or_b32 v0, v0, s12, 32
	s_mov_b32 s12, 0
	v_mov_b32_e32 v3, v2
	v_readfirstlane_b32 s16, v10
	v_readfirstlane_b32 s17, v11
	v_add_co_u32_e32 v6, vcc, v10, v31
	s_mov_b32 s13, s12
	s_mov_b32 s14, s12
	;; [unrolled: 1-line block ×3, first 2 shown]
	s_nop 0
	global_store_dwordx4 v31, v[0:3], s[16:17]
	v_addc_co_u32_e32 v7, vcc, 0, v11, vcc
	v_mov_b32_e32 v0, s12
	v_mov_b32_e32 v1, s13
	;; [unrolled: 1-line block ×4, first 2 shown]
	global_store_dwordx4 v31, v[0:3], s[16:17] offset:16
	global_store_dwordx4 v31, v[0:3], s[16:17] offset:32
	;; [unrolled: 1-line block ×3, first 2 shown]
	s_and_saveexec_b64 s[12:13], s[4:5]
	s_cbranch_execz .LBB6_1299
; %bb.1292:
	v_mov_b32_e32 v10, 0
	global_load_dwordx2 v[13:14], v10, s[6:7] offset:32 glc
	global_load_dwordx2 v[0:1], v10, s[6:7] offset:40
	v_mov_b32_e32 v11, s10
	v_mov_b32_e32 v12, s11
	s_waitcnt vmcnt(0)
	v_readfirstlane_b32 s14, v0
	v_readfirstlane_b32 s15, v1
	s_and_b64 s[14:15], s[14:15], s[10:11]
	s_mul_i32 s15, s15, 24
	s_mul_hi_u32 s16, s14, 24
	s_mul_i32 s14, s14, 24
	s_add_i32 s15, s16, s15
	v_mov_b32_e32 v0, s15
	v_add_co_u32_e32 v4, vcc, s14, v4
	v_addc_co_u32_e32 v5, vcc, v5, v0, vcc
	global_store_dwordx2 v[4:5], v[13:14], off
	s_waitcnt vmcnt(0)
	global_atomic_cmpswap_x2 v[2:3], v10, v[11:14], s[6:7] offset:32 glc
	s_waitcnt vmcnt(0)
	v_cmp_ne_u64_e32 vcc, v[2:3], v[13:14]
	s_and_saveexec_b64 s[14:15], vcc
	s_cbranch_execz .LBB6_1295
; %bb.1293:
	s_mov_b64 s[16:17], 0
.LBB6_1294:                             ; =>This Inner Loop Header: Depth=1
	s_sleep 1
	global_store_dwordx2 v[4:5], v[2:3], off
	v_mov_b32_e32 v0, s10
	v_mov_b32_e32 v1, s11
	s_waitcnt vmcnt(0)
	global_atomic_cmpswap_x2 v[0:1], v10, v[0:3], s[6:7] offset:32 glc
	s_waitcnt vmcnt(0)
	v_cmp_eq_u64_e32 vcc, v[0:1], v[2:3]
	v_mov_b32_e32 v3, v1
	s_or_b64 s[16:17], vcc, s[16:17]
	v_mov_b32_e32 v2, v0
	s_andn2_b64 exec, exec, s[16:17]
	s_cbranch_execnz .LBB6_1294
.LBB6_1295:
	s_or_b64 exec, exec, s[14:15]
	v_mov_b32_e32 v3, 0
	global_load_dwordx2 v[0:1], v3, s[6:7] offset:16
	s_mov_b64 s[14:15], exec
	v_mbcnt_lo_u32_b32 v2, s14, 0
	v_mbcnt_hi_u32_b32 v2, s15, v2
	v_cmp_eq_u32_e32 vcc, 0, v2
	s_and_saveexec_b64 s[16:17], vcc
	s_cbranch_execz .LBB6_1297
; %bb.1296:
	s_bcnt1_i32_b64 s14, s[14:15]
	v_mov_b32_e32 v2, s14
	s_waitcnt vmcnt(0)
	global_atomic_add_x2 v[0:1], v[2:3], off offset:8
.LBB6_1297:
	s_or_b64 exec, exec, s[16:17]
	s_waitcnt vmcnt(0)
	global_load_dwordx2 v[2:3], v[0:1], off offset:16
	s_waitcnt vmcnt(0)
	v_cmp_eq_u64_e32 vcc, 0, v[2:3]
	s_cbranch_vccnz .LBB6_1299
; %bb.1298:
	global_load_dword v0, v[0:1], off offset:24
	v_mov_b32_e32 v1, 0
	s_waitcnt vmcnt(0)
	global_store_dwordx2 v[2:3], v[0:1], off
	v_and_b32_e32 v0, 0xffffff, v0
	v_readfirstlane_b32 m0, v0
	s_sendmsg sendmsg(MSG_INTERRUPT)
.LBB6_1299:
	s_or_b64 exec, exec, s[12:13]
	s_branch .LBB6_1303
.LBB6_1300:                             ;   in Loop: Header=BB6_1303 Depth=1
	s_or_b64 exec, exec, s[12:13]
	v_readfirstlane_b32 s12, v0
	s_cmp_eq_u32 s12, 0
	s_cbranch_scc1 .LBB6_1302
; %bb.1301:                             ;   in Loop: Header=BB6_1303 Depth=1
	s_sleep 1
	s_cbranch_execnz .LBB6_1303
	s_branch .LBB6_1305
.LBB6_1302:
	s_branch .LBB6_1305
.LBB6_1303:                             ; =>This Inner Loop Header: Depth=1
	v_mov_b32_e32 v0, 1
	s_and_saveexec_b64 s[12:13], s[4:5]
	s_cbranch_execz .LBB6_1300
; %bb.1304:                             ;   in Loop: Header=BB6_1303 Depth=1
	global_load_dword v0, v[8:9], off offset:20 glc
	s_waitcnt vmcnt(0)
	buffer_wbinvl1_vol
	v_and_b32_e32 v0, 1, v0
	s_branch .LBB6_1300
.LBB6_1305:
	global_load_dwordx2 v[2:3], v[6:7], off
	s_and_saveexec_b64 s[12:13], s[4:5]
	s_cbranch_execz .LBB6_1308
; %bb.1306:
	v_mov_b32_e32 v8, 0
	global_load_dwordx2 v[0:1], v8, s[6:7] offset:40
	global_load_dwordx2 v[9:10], v8, s[6:7] offset:24 glc
	global_load_dwordx2 v[11:12], v8, s[6:7]
	v_mov_b32_e32 v5, s11
	s_mov_b64 s[4:5], 0
	s_waitcnt vmcnt(2)
	v_add_co_u32_e32 v6, vcc, 1, v0
	v_addc_co_u32_e32 v7, vcc, 0, v1, vcc
	v_add_co_u32_e32 v4, vcc, s10, v6
	v_addc_co_u32_e32 v5, vcc, v7, v5, vcc
	v_cmp_eq_u64_e32 vcc, 0, v[4:5]
	v_cndmask_b32_e32 v5, v5, v7, vcc
	v_cndmask_b32_e32 v4, v4, v6, vcc
	v_and_b32_e32 v1, v5, v1
	v_and_b32_e32 v0, v4, v0
	v_mul_lo_u32 v1, v1, 24
	v_mul_hi_u32 v7, v0, 24
	v_mul_lo_u32 v0, v0, 24
	s_waitcnt vmcnt(1)
	v_mov_b32_e32 v6, v9
	v_add_u32_e32 v1, v7, v1
	s_waitcnt vmcnt(0)
	v_add_co_u32_e32 v0, vcc, v11, v0
	v_addc_co_u32_e32 v1, vcc, v12, v1, vcc
	global_store_dwordx2 v[0:1], v[9:10], off
	v_mov_b32_e32 v7, v10
	s_waitcnt vmcnt(0)
	global_atomic_cmpswap_x2 v[6:7], v8, v[4:7], s[6:7] offset:24 glc
	s_waitcnt vmcnt(0)
	v_cmp_ne_u64_e32 vcc, v[6:7], v[9:10]
	s_and_b64 exec, exec, vcc
	s_cbranch_execz .LBB6_1308
.LBB6_1307:                             ; =>This Inner Loop Header: Depth=1
	s_sleep 1
	global_store_dwordx2 v[0:1], v[6:7], off
	s_waitcnt vmcnt(0)
	global_atomic_cmpswap_x2 v[9:10], v8, v[4:7], s[6:7] offset:24 glc
	s_waitcnt vmcnt(0)
	v_cmp_eq_u64_e32 vcc, v[9:10], v[6:7]
	v_mov_b32_e32 v6, v9
	s_or_b64 s[4:5], vcc, s[4:5]
	v_mov_b32_e32 v7, v10
	s_andn2_b64 exec, exec, s[4:5]
	s_cbranch_execnz .LBB6_1307
.LBB6_1308:
	s_or_b64 exec, exec, s[12:13]
.LBB6_1309:
	v_readfirstlane_b32 s4, v32
	s_waitcnt vmcnt(0)
	v_mov_b32_e32 v0, 0
	v_mov_b32_e32 v1, 0
	v_cmp_eq_u32_e64 s[4:5], s4, v32
	s_and_saveexec_b64 s[10:11], s[4:5]
	s_cbranch_execz .LBB6_1315
; %bb.1310:
	v_mov_b32_e32 v4, 0
	global_load_dwordx2 v[7:8], v4, s[6:7] offset:24 glc
	s_waitcnt vmcnt(0)
	buffer_wbinvl1_vol
	global_load_dwordx2 v[0:1], v4, s[6:7] offset:40
	global_load_dwordx2 v[5:6], v4, s[6:7]
	s_waitcnt vmcnt(1)
	v_and_b32_e32 v0, v0, v7
	v_and_b32_e32 v1, v1, v8
	v_mul_lo_u32 v1, v1, 24
	v_mul_hi_u32 v9, v0, 24
	v_mul_lo_u32 v0, v0, 24
	v_add_u32_e32 v1, v9, v1
	s_waitcnt vmcnt(0)
	v_add_co_u32_e32 v0, vcc, v5, v0
	v_addc_co_u32_e32 v1, vcc, v6, v1, vcc
	global_load_dwordx2 v[5:6], v[0:1], off glc
	s_waitcnt vmcnt(0)
	global_atomic_cmpswap_x2 v[0:1], v4, v[5:8], s[6:7] offset:24 glc
	s_waitcnt vmcnt(0)
	buffer_wbinvl1_vol
	v_cmp_ne_u64_e32 vcc, v[0:1], v[7:8]
	s_and_saveexec_b64 s[12:13], vcc
	s_cbranch_execz .LBB6_1314
; %bb.1311:
	s_mov_b64 s[14:15], 0
.LBB6_1312:                             ; =>This Inner Loop Header: Depth=1
	s_sleep 1
	global_load_dwordx2 v[5:6], v4, s[6:7] offset:40
	global_load_dwordx2 v[9:10], v4, s[6:7]
	v_mov_b32_e32 v8, v1
	v_mov_b32_e32 v7, v0
	s_waitcnt vmcnt(1)
	v_and_b32_e32 v0, v5, v7
	s_waitcnt vmcnt(0)
	v_mad_u64_u32 v[0:1], s[16:17], v0, 24, v[9:10]
	v_and_b32_e32 v5, v6, v8
	v_mad_u64_u32 v[5:6], s[16:17], v5, 24, v[1:2]
	v_mov_b32_e32 v1, v5
	global_load_dwordx2 v[5:6], v[0:1], off glc
	s_waitcnt vmcnt(0)
	global_atomic_cmpswap_x2 v[0:1], v4, v[5:8], s[6:7] offset:24 glc
	s_waitcnt vmcnt(0)
	buffer_wbinvl1_vol
	v_cmp_eq_u64_e32 vcc, v[0:1], v[7:8]
	s_or_b64 s[14:15], vcc, s[14:15]
	s_andn2_b64 exec, exec, s[14:15]
	s_cbranch_execnz .LBB6_1312
; %bb.1313:
	s_or_b64 exec, exec, s[14:15]
.LBB6_1314:
	s_or_b64 exec, exec, s[12:13]
.LBB6_1315:
	s_or_b64 exec, exec, s[10:11]
	v_mov_b32_e32 v5, 0
	global_load_dwordx2 v[10:11], v5, s[6:7] offset:40
	global_load_dwordx4 v[6:9], v5, s[6:7]
	v_readfirstlane_b32 s10, v0
	v_readfirstlane_b32 s11, v1
	s_mov_b64 s[12:13], exec
	s_waitcnt vmcnt(1)
	v_readfirstlane_b32 s14, v10
	v_readfirstlane_b32 s15, v11
	s_and_b64 s[14:15], s[10:11], s[14:15]
	s_mul_i32 s16, s15, 24
	s_mul_hi_u32 s17, s14, 24
	s_mul_i32 s18, s14, 24
	s_add_i32 s16, s17, s16
	v_mov_b32_e32 v0, s16
	s_waitcnt vmcnt(0)
	v_add_co_u32_e32 v10, vcc, s18, v6
	v_addc_co_u32_e32 v11, vcc, v7, v0, vcc
	s_and_saveexec_b64 s[16:17], s[4:5]
	s_cbranch_execz .LBB6_1317
; %bb.1316:
	v_mov_b32_e32 v12, s12
	v_mov_b32_e32 v13, s13
	;; [unrolled: 1-line block ×4, first 2 shown]
	global_store_dwordx4 v[10:11], v[12:15], off offset:8
.LBB6_1317:
	s_or_b64 exec, exec, s[16:17]
	s_lshl_b64 s[12:13], s[14:15], 12
	v_mov_b32_e32 v0, s13
	v_add_co_u32_e32 v1, vcc, s12, v8
	v_addc_co_u32_e32 v0, vcc, v9, v0, vcc
	s_movk_i32 s12, 0xff1d
	v_and_or_b32 v2, v2, s12, 34
	s_mov_b32 s12, 0
	v_mov_b32_e32 v4, 10
	v_readfirstlane_b32 s16, v1
	v_readfirstlane_b32 s17, v0
	s_mov_b32 s13, s12
	s_mov_b32 s14, s12
	;; [unrolled: 1-line block ×3, first 2 shown]
	s_nop 1
	global_store_dwordx4 v31, v[2:5], s[16:17]
	v_mov_b32_e32 v0, s12
	v_mov_b32_e32 v1, s13
	;; [unrolled: 1-line block ×4, first 2 shown]
	global_store_dwordx4 v31, v[0:3], s[16:17] offset:16
	global_store_dwordx4 v31, v[0:3], s[16:17] offset:32
	;; [unrolled: 1-line block ×3, first 2 shown]
	s_and_saveexec_b64 s[12:13], s[4:5]
	s_cbranch_execz .LBB6_1325
; %bb.1318:
	v_mov_b32_e32 v8, 0
	global_load_dwordx2 v[14:15], v8, s[6:7] offset:32 glc
	global_load_dwordx2 v[0:1], v8, s[6:7] offset:40
	v_mov_b32_e32 v12, s10
	v_mov_b32_e32 v13, s11
	s_waitcnt vmcnt(0)
	v_readfirstlane_b32 s14, v0
	v_readfirstlane_b32 s15, v1
	s_and_b64 s[14:15], s[14:15], s[10:11]
	s_mul_i32 s15, s15, 24
	s_mul_hi_u32 s16, s14, 24
	s_mul_i32 s14, s14, 24
	s_add_i32 s15, s16, s15
	v_mov_b32_e32 v0, s15
	v_add_co_u32_e32 v4, vcc, s14, v6
	v_addc_co_u32_e32 v5, vcc, v7, v0, vcc
	global_store_dwordx2 v[4:5], v[14:15], off
	s_waitcnt vmcnt(0)
	global_atomic_cmpswap_x2 v[2:3], v8, v[12:15], s[6:7] offset:32 glc
	s_waitcnt vmcnt(0)
	v_cmp_ne_u64_e32 vcc, v[2:3], v[14:15]
	s_and_saveexec_b64 s[14:15], vcc
	s_cbranch_execz .LBB6_1321
; %bb.1319:
	s_mov_b64 s[16:17], 0
.LBB6_1320:                             ; =>This Inner Loop Header: Depth=1
	s_sleep 1
	global_store_dwordx2 v[4:5], v[2:3], off
	v_mov_b32_e32 v0, s10
	v_mov_b32_e32 v1, s11
	s_waitcnt vmcnt(0)
	global_atomic_cmpswap_x2 v[0:1], v8, v[0:3], s[6:7] offset:32 glc
	s_waitcnt vmcnt(0)
	v_cmp_eq_u64_e32 vcc, v[0:1], v[2:3]
	v_mov_b32_e32 v3, v1
	s_or_b64 s[16:17], vcc, s[16:17]
	v_mov_b32_e32 v2, v0
	s_andn2_b64 exec, exec, s[16:17]
	s_cbranch_execnz .LBB6_1320
.LBB6_1321:
	s_or_b64 exec, exec, s[14:15]
	v_mov_b32_e32 v3, 0
	global_load_dwordx2 v[0:1], v3, s[6:7] offset:16
	s_mov_b64 s[14:15], exec
	v_mbcnt_lo_u32_b32 v2, s14, 0
	v_mbcnt_hi_u32_b32 v2, s15, v2
	v_cmp_eq_u32_e32 vcc, 0, v2
	s_and_saveexec_b64 s[16:17], vcc
	s_cbranch_execz .LBB6_1323
; %bb.1322:
	s_bcnt1_i32_b64 s14, s[14:15]
	v_mov_b32_e32 v2, s14
	s_waitcnt vmcnt(0)
	global_atomic_add_x2 v[0:1], v[2:3], off offset:8
.LBB6_1323:
	s_or_b64 exec, exec, s[16:17]
	s_waitcnt vmcnt(0)
	global_load_dwordx2 v[2:3], v[0:1], off offset:16
	s_waitcnt vmcnt(0)
	v_cmp_eq_u64_e32 vcc, 0, v[2:3]
	s_cbranch_vccnz .LBB6_1325
; %bb.1324:
	global_load_dword v0, v[0:1], off offset:24
	v_mov_b32_e32 v1, 0
	s_waitcnt vmcnt(0)
	global_store_dwordx2 v[2:3], v[0:1], off
	v_and_b32_e32 v0, 0xffffff, v0
	v_readfirstlane_b32 m0, v0
	s_sendmsg sendmsg(MSG_INTERRUPT)
.LBB6_1325:
	s_or_b64 exec, exec, s[12:13]
	s_branch .LBB6_1329
.LBB6_1326:                             ;   in Loop: Header=BB6_1329 Depth=1
	s_or_b64 exec, exec, s[12:13]
	v_readfirstlane_b32 s12, v0
	s_cmp_eq_u32 s12, 0
	s_cbranch_scc1 .LBB6_1328
; %bb.1327:                             ;   in Loop: Header=BB6_1329 Depth=1
	s_sleep 1
	s_cbranch_execnz .LBB6_1329
	s_branch .LBB6_1331
.LBB6_1328:
	s_branch .LBB6_1331
.LBB6_1329:                             ; =>This Inner Loop Header: Depth=1
	v_mov_b32_e32 v0, 1
	s_and_saveexec_b64 s[12:13], s[4:5]
	s_cbranch_execz .LBB6_1326
; %bb.1330:                             ;   in Loop: Header=BB6_1329 Depth=1
	global_load_dword v0, v[10:11], off offset:20 glc
	s_waitcnt vmcnt(0)
	buffer_wbinvl1_vol
	v_and_b32_e32 v0, 1, v0
	s_branch .LBB6_1326
.LBB6_1331:
	s_and_saveexec_b64 s[12:13], s[4:5]
	s_cbranch_execz .LBB6_1334
; %bb.1332:
	v_mov_b32_e32 v6, 0
	global_load_dwordx2 v[2:3], v6, s[6:7] offset:40
	global_load_dwordx2 v[7:8], v6, s[6:7] offset:24 glc
	global_load_dwordx2 v[4:5], v6, s[6:7]
	v_mov_b32_e32 v1, s11
	s_mov_b64 s[4:5], 0
	s_waitcnt vmcnt(2)
	v_add_co_u32_e32 v9, vcc, 1, v2
	v_addc_co_u32_e32 v10, vcc, 0, v3, vcc
	v_add_co_u32_e32 v0, vcc, s10, v9
	v_addc_co_u32_e32 v1, vcc, v10, v1, vcc
	v_cmp_eq_u64_e32 vcc, 0, v[0:1]
	v_cndmask_b32_e32 v1, v1, v10, vcc
	v_cndmask_b32_e32 v0, v0, v9, vcc
	v_and_b32_e32 v3, v1, v3
	v_and_b32_e32 v2, v0, v2
	v_mul_lo_u32 v3, v3, 24
	v_mul_hi_u32 v9, v2, 24
	v_mul_lo_u32 v10, v2, 24
	s_waitcnt vmcnt(1)
	v_mov_b32_e32 v2, v7
	v_add_u32_e32 v3, v9, v3
	s_waitcnt vmcnt(0)
	v_add_co_u32_e32 v4, vcc, v4, v10
	v_addc_co_u32_e32 v5, vcc, v5, v3, vcc
	global_store_dwordx2 v[4:5], v[7:8], off
	v_mov_b32_e32 v3, v8
	s_waitcnt vmcnt(0)
	global_atomic_cmpswap_x2 v[2:3], v6, v[0:3], s[6:7] offset:24 glc
	s_waitcnt vmcnt(0)
	v_cmp_ne_u64_e32 vcc, v[2:3], v[7:8]
	s_and_b64 exec, exec, vcc
	s_cbranch_execz .LBB6_1334
.LBB6_1333:                             ; =>This Inner Loop Header: Depth=1
	s_sleep 1
	global_store_dwordx2 v[4:5], v[2:3], off
	s_waitcnt vmcnt(0)
	global_atomic_cmpswap_x2 v[7:8], v6, v[0:3], s[6:7] offset:24 glc
	s_waitcnt vmcnt(0)
	v_cmp_eq_u64_e32 vcc, v[7:8], v[2:3]
	v_mov_b32_e32 v2, v7
	s_or_b64 s[4:5], vcc, s[4:5]
	v_mov_b32_e32 v3, v8
	s_andn2_b64 exec, exec, s[4:5]
	s_cbranch_execnz .LBB6_1333
.LBB6_1334:
	s_or_b64 exec, exec, s[12:13]
	v_readfirstlane_b32 s4, v32
	v_mov_b32_e32 v5, 0
	v_mov_b32_e32 v6, 0
	v_cmp_eq_u32_e64 s[4:5], s4, v32
	s_and_saveexec_b64 s[10:11], s[4:5]
	s_cbranch_execz .LBB6_1340
; %bb.1335:
	v_mov_b32_e32 v0, 0
	global_load_dwordx2 v[3:4], v0, s[6:7] offset:24 glc
	s_waitcnt vmcnt(0)
	buffer_wbinvl1_vol
	global_load_dwordx2 v[1:2], v0, s[6:7] offset:40
	global_load_dwordx2 v[5:6], v0, s[6:7]
	s_waitcnt vmcnt(1)
	v_and_b32_e32 v1, v1, v3
	v_and_b32_e32 v2, v2, v4
	v_mul_lo_u32 v2, v2, 24
	v_mul_hi_u32 v7, v1, 24
	v_mul_lo_u32 v1, v1, 24
	v_add_u32_e32 v2, v7, v2
	s_waitcnt vmcnt(0)
	v_add_co_u32_e32 v1, vcc, v5, v1
	v_addc_co_u32_e32 v2, vcc, v6, v2, vcc
	global_load_dwordx2 v[1:2], v[1:2], off glc
	s_waitcnt vmcnt(0)
	global_atomic_cmpswap_x2 v[5:6], v0, v[1:4], s[6:7] offset:24 glc
	s_waitcnt vmcnt(0)
	buffer_wbinvl1_vol
	v_cmp_ne_u64_e32 vcc, v[5:6], v[3:4]
	s_and_saveexec_b64 s[12:13], vcc
	s_cbranch_execz .LBB6_1339
; %bb.1336:
	s_mov_b64 s[14:15], 0
.LBB6_1337:                             ; =>This Inner Loop Header: Depth=1
	s_sleep 1
	global_load_dwordx2 v[1:2], v0, s[6:7] offset:40
	global_load_dwordx2 v[7:8], v0, s[6:7]
	v_mov_b32_e32 v3, v5
	v_mov_b32_e32 v4, v6
	s_waitcnt vmcnt(1)
	v_and_b32_e32 v1, v1, v3
	s_waitcnt vmcnt(0)
	v_mad_u64_u32 v[5:6], s[16:17], v1, 24, v[7:8]
	v_and_b32_e32 v2, v2, v4
	v_mov_b32_e32 v1, v6
	v_mad_u64_u32 v[1:2], s[16:17], v2, 24, v[1:2]
	v_mov_b32_e32 v6, v1
	global_load_dwordx2 v[1:2], v[5:6], off glc
	s_waitcnt vmcnt(0)
	global_atomic_cmpswap_x2 v[5:6], v0, v[1:4], s[6:7] offset:24 glc
	s_waitcnt vmcnt(0)
	buffer_wbinvl1_vol
	v_cmp_eq_u64_e32 vcc, v[5:6], v[3:4]
	s_or_b64 s[14:15], vcc, s[14:15]
	s_andn2_b64 exec, exec, s[14:15]
	s_cbranch_execnz .LBB6_1337
; %bb.1338:
	s_or_b64 exec, exec, s[14:15]
.LBB6_1339:
	s_or_b64 exec, exec, s[12:13]
.LBB6_1340:
	s_or_b64 exec, exec, s[10:11]
	v_mov_b32_e32 v4, 0
	global_load_dwordx2 v[7:8], v4, s[6:7] offset:40
	global_load_dwordx4 v[0:3], v4, s[6:7]
	v_readfirstlane_b32 s10, v5
	v_readfirstlane_b32 s11, v6
	s_mov_b64 s[12:13], exec
	s_waitcnt vmcnt(1)
	v_readfirstlane_b32 s14, v7
	v_readfirstlane_b32 s15, v8
	s_and_b64 s[14:15], s[10:11], s[14:15]
	s_mul_i32 s16, s15, 24
	s_mul_hi_u32 s17, s14, 24
	s_mul_i32 s18, s14, 24
	s_add_i32 s16, s17, s16
	v_mov_b32_e32 v5, s16
	s_waitcnt vmcnt(0)
	v_add_co_u32_e32 v7, vcc, s18, v0
	v_addc_co_u32_e32 v8, vcc, v1, v5, vcc
	s_and_saveexec_b64 s[16:17], s[4:5]
	s_cbranch_execz .LBB6_1342
; %bb.1341:
	v_mov_b32_e32 v9, s12
	v_mov_b32_e32 v10, s13
	;; [unrolled: 1-line block ×4, first 2 shown]
	global_store_dwordx4 v[7:8], v[9:12], off offset:8
.LBB6_1342:
	s_or_b64 exec, exec, s[16:17]
	s_lshl_b64 s[12:13], s[14:15], 12
	v_mov_b32_e32 v5, s13
	v_add_co_u32_e32 v2, vcc, s12, v2
	v_addc_co_u32_e32 v11, vcc, v3, v5, vcc
	s_mov_b32 s12, 0
	v_mov_b32_e32 v3, 33
	v_mov_b32_e32 v5, v4
	;; [unrolled: 1-line block ×3, first 2 shown]
	v_readfirstlane_b32 s16, v2
	v_readfirstlane_b32 s17, v11
	v_add_co_u32_e32 v9, vcc, v2, v31
	s_mov_b32 s13, s12
	s_mov_b32 s14, s12
	;; [unrolled: 1-line block ×3, first 2 shown]
	s_nop 0
	global_store_dwordx4 v31, v[3:6], s[16:17]
	v_mov_b32_e32 v2, s12
	v_addc_co_u32_e32 v10, vcc, 0, v11, vcc
	v_mov_b32_e32 v3, s13
	v_mov_b32_e32 v4, s14
	;; [unrolled: 1-line block ×3, first 2 shown]
	global_store_dwordx4 v31, v[2:5], s[16:17] offset:16
	global_store_dwordx4 v31, v[2:5], s[16:17] offset:32
	;; [unrolled: 1-line block ×3, first 2 shown]
	s_and_saveexec_b64 s[12:13], s[4:5]
	s_cbranch_execz .LBB6_1350
; %bb.1343:
	v_mov_b32_e32 v6, 0
	global_load_dwordx2 v[13:14], v6, s[6:7] offset:32 glc
	global_load_dwordx2 v[2:3], v6, s[6:7] offset:40
	v_mov_b32_e32 v11, s10
	v_mov_b32_e32 v12, s11
	s_waitcnt vmcnt(0)
	v_readfirstlane_b32 s14, v2
	v_readfirstlane_b32 s15, v3
	s_and_b64 s[14:15], s[14:15], s[10:11]
	s_mul_i32 s15, s15, 24
	s_mul_hi_u32 s16, s14, 24
	s_mul_i32 s14, s14, 24
	s_add_i32 s15, s16, s15
	v_mov_b32_e32 v2, s15
	v_add_co_u32_e32 v4, vcc, s14, v0
	v_addc_co_u32_e32 v5, vcc, v1, v2, vcc
	global_store_dwordx2 v[4:5], v[13:14], off
	s_waitcnt vmcnt(0)
	global_atomic_cmpswap_x2 v[2:3], v6, v[11:14], s[6:7] offset:32 glc
	s_waitcnt vmcnt(0)
	v_cmp_ne_u64_e32 vcc, v[2:3], v[13:14]
	s_and_saveexec_b64 s[14:15], vcc
	s_cbranch_execz .LBB6_1346
; %bb.1344:
	s_mov_b64 s[16:17], 0
.LBB6_1345:                             ; =>This Inner Loop Header: Depth=1
	s_sleep 1
	global_store_dwordx2 v[4:5], v[2:3], off
	v_mov_b32_e32 v0, s10
	v_mov_b32_e32 v1, s11
	s_waitcnt vmcnt(0)
	global_atomic_cmpswap_x2 v[0:1], v6, v[0:3], s[6:7] offset:32 glc
	s_waitcnt vmcnt(0)
	v_cmp_eq_u64_e32 vcc, v[0:1], v[2:3]
	v_mov_b32_e32 v3, v1
	s_or_b64 s[16:17], vcc, s[16:17]
	v_mov_b32_e32 v2, v0
	s_andn2_b64 exec, exec, s[16:17]
	s_cbranch_execnz .LBB6_1345
.LBB6_1346:
	s_or_b64 exec, exec, s[14:15]
	v_mov_b32_e32 v3, 0
	global_load_dwordx2 v[0:1], v3, s[6:7] offset:16
	s_mov_b64 s[14:15], exec
	v_mbcnt_lo_u32_b32 v2, s14, 0
	v_mbcnt_hi_u32_b32 v2, s15, v2
	v_cmp_eq_u32_e32 vcc, 0, v2
	s_and_saveexec_b64 s[16:17], vcc
	s_cbranch_execz .LBB6_1348
; %bb.1347:
	s_bcnt1_i32_b64 s14, s[14:15]
	v_mov_b32_e32 v2, s14
	s_waitcnt vmcnt(0)
	global_atomic_add_x2 v[0:1], v[2:3], off offset:8
.LBB6_1348:
	s_or_b64 exec, exec, s[16:17]
	s_waitcnt vmcnt(0)
	global_load_dwordx2 v[2:3], v[0:1], off offset:16
	s_waitcnt vmcnt(0)
	v_cmp_eq_u64_e32 vcc, 0, v[2:3]
	s_cbranch_vccnz .LBB6_1350
; %bb.1349:
	global_load_dword v0, v[0:1], off offset:24
	v_mov_b32_e32 v1, 0
	s_waitcnt vmcnt(0)
	global_store_dwordx2 v[2:3], v[0:1], off
	v_and_b32_e32 v0, 0xffffff, v0
	v_readfirstlane_b32 m0, v0
	s_sendmsg sendmsg(MSG_INTERRUPT)
.LBB6_1350:
	s_or_b64 exec, exec, s[12:13]
	s_branch .LBB6_1354
.LBB6_1351:                             ;   in Loop: Header=BB6_1354 Depth=1
	s_or_b64 exec, exec, s[12:13]
	v_readfirstlane_b32 s12, v0
	s_cmp_eq_u32 s12, 0
	s_cbranch_scc1 .LBB6_1353
; %bb.1352:                             ;   in Loop: Header=BB6_1354 Depth=1
	s_sleep 1
	s_cbranch_execnz .LBB6_1354
	s_branch .LBB6_1356
.LBB6_1353:
	s_branch .LBB6_1356
.LBB6_1354:                             ; =>This Inner Loop Header: Depth=1
	v_mov_b32_e32 v0, 1
	s_and_saveexec_b64 s[12:13], s[4:5]
	s_cbranch_execz .LBB6_1351
; %bb.1355:                             ;   in Loop: Header=BB6_1354 Depth=1
	global_load_dword v0, v[7:8], off offset:20 glc
	s_waitcnt vmcnt(0)
	buffer_wbinvl1_vol
	v_and_b32_e32 v0, 1, v0
	s_branch .LBB6_1351
.LBB6_1356:
	global_load_dwordx2 v[4:5], v[9:10], off
	s_and_saveexec_b64 s[12:13], s[4:5]
	s_cbranch_execz .LBB6_1359
; %bb.1357:
	v_mov_b32_e32 v8, 0
	global_load_dwordx2 v[2:3], v8, s[6:7] offset:40
	global_load_dwordx2 v[9:10], v8, s[6:7] offset:24 glc
	global_load_dwordx2 v[6:7], v8, s[6:7]
	v_mov_b32_e32 v1, s11
	s_mov_b64 s[4:5], 0
	s_waitcnt vmcnt(2)
	v_add_co_u32_e32 v11, vcc, 1, v2
	v_addc_co_u32_e32 v12, vcc, 0, v3, vcc
	v_add_co_u32_e32 v0, vcc, s10, v11
	v_addc_co_u32_e32 v1, vcc, v12, v1, vcc
	v_cmp_eq_u64_e32 vcc, 0, v[0:1]
	v_cndmask_b32_e32 v1, v1, v12, vcc
	v_cndmask_b32_e32 v0, v0, v11, vcc
	v_and_b32_e32 v3, v1, v3
	v_and_b32_e32 v2, v0, v2
	v_mul_lo_u32 v3, v3, 24
	v_mul_hi_u32 v11, v2, 24
	v_mul_lo_u32 v12, v2, 24
	s_waitcnt vmcnt(1)
	v_mov_b32_e32 v2, v9
	v_add_u32_e32 v3, v11, v3
	s_waitcnt vmcnt(0)
	v_add_co_u32_e32 v6, vcc, v6, v12
	v_addc_co_u32_e32 v7, vcc, v7, v3, vcc
	global_store_dwordx2 v[6:7], v[9:10], off
	v_mov_b32_e32 v3, v10
	s_waitcnt vmcnt(0)
	global_atomic_cmpswap_x2 v[2:3], v8, v[0:3], s[6:7] offset:24 glc
	s_waitcnt vmcnt(0)
	v_cmp_ne_u64_e32 vcc, v[2:3], v[9:10]
	s_and_b64 exec, exec, vcc
	s_cbranch_execz .LBB6_1359
.LBB6_1358:                             ; =>This Inner Loop Header: Depth=1
	s_sleep 1
	global_store_dwordx2 v[6:7], v[2:3], off
	s_waitcnt vmcnt(0)
	global_atomic_cmpswap_x2 v[9:10], v8, v[0:3], s[6:7] offset:24 glc
	s_waitcnt vmcnt(0)
	v_cmp_eq_u64_e32 vcc, v[9:10], v[2:3]
	v_mov_b32_e32 v2, v9
	s_or_b64 s[4:5], vcc, s[4:5]
	v_mov_b32_e32 v3, v10
	s_andn2_b64 exec, exec, s[4:5]
	s_cbranch_execnz .LBB6_1358
.LBB6_1359:
	s_or_b64 exec, exec, s[12:13]
	s_and_b64 vcc, exec, s[8:9]
	s_cbranch_vccz .LBB6_1444
; %bb.1360:
	s_waitcnt vmcnt(0)
	v_and_b32_e32 v29, 2, v4
	v_mov_b32_e32 v26, 0
	v_and_b32_e32 v0, -3, v4
	v_mov_b32_e32 v1, v5
	s_mov_b64 s[10:11], 3
	v_mov_b32_e32 v8, 2
	v_mov_b32_e32 v9, 1
	s_getpc_b64 s[8:9]
	s_add_u32 s8, s8, .str.5@rel32@lo+4
	s_addc_u32 s9, s9, .str.5@rel32@hi+12
	s_branch .LBB6_1362
.LBB6_1361:                             ;   in Loop: Header=BB6_1362 Depth=1
	s_or_b64 exec, exec, s[16:17]
	s_sub_u32 s10, s10, s12
	s_subb_u32 s11, s11, s13
	s_add_u32 s8, s8, s12
	s_addc_u32 s9, s9, s13
	s_cmp_lg_u64 s[10:11], 0
	s_cbranch_scc0 .LBB6_1443
.LBB6_1362:                             ; =>This Loop Header: Depth=1
                                        ;     Child Loop BB6_1365 Depth 2
                                        ;     Child Loop BB6_1372 Depth 2
	;; [unrolled: 1-line block ×11, first 2 shown]
	v_cmp_lt_u64_e64 s[4:5], s[10:11], 56
	v_cmp_gt_u64_e64 s[14:15], s[10:11], 7
	s_and_b64 s[4:5], s[4:5], exec
	s_cselect_b32 s13, s11, 0
	s_cselect_b32 s12, s10, 56
	s_and_b64 vcc, exec, s[14:15]
	s_cbranch_vccnz .LBB6_1367
; %bb.1363:                             ;   in Loop: Header=BB6_1362 Depth=1
	s_waitcnt vmcnt(0)
	v_mov_b32_e32 v2, 0
	s_cmp_eq_u64 s[10:11], 0
	v_mov_b32_e32 v3, 0
	s_mov_b64 s[4:5], 0
	s_cbranch_scc1 .LBB6_1366
; %bb.1364:                             ;   in Loop: Header=BB6_1362 Depth=1
	v_mov_b32_e32 v2, 0
	s_lshl_b64 s[14:15], s[12:13], 3
	s_mov_b64 s[16:17], 0
	v_mov_b32_e32 v3, 0
	s_mov_b64 s[18:19], s[8:9]
.LBB6_1365:                             ;   Parent Loop BB6_1362 Depth=1
                                        ; =>  This Inner Loop Header: Depth=2
	global_load_ubyte v6, v26, s[18:19]
	s_waitcnt vmcnt(0)
	v_and_b32_e32 v25, 0xffff, v6
	v_lshlrev_b64 v[6:7], s16, v[25:26]
	s_add_u32 s16, s16, 8
	s_addc_u32 s17, s17, 0
	s_add_u32 s18, s18, 1
	s_addc_u32 s19, s19, 0
	v_or_b32_e32 v2, v6, v2
	s_cmp_lg_u32 s14, s16
	v_or_b32_e32 v3, v7, v3
	s_cbranch_scc1 .LBB6_1365
.LBB6_1366:                             ;   in Loop: Header=BB6_1362 Depth=1
	s_mov_b32 s18, 0
	s_andn2_b64 vcc, exec, s[4:5]
	s_mov_b64 s[4:5], s[8:9]
	s_cbranch_vccz .LBB6_1368
	s_branch .LBB6_1369
.LBB6_1367:                             ;   in Loop: Header=BB6_1362 Depth=1
                                        ; implicit-def: $vgpr2_vgpr3
                                        ; implicit-def: $sgpr18
	s_mov_b64 s[4:5], s[8:9]
.LBB6_1368:                             ;   in Loop: Header=BB6_1362 Depth=1
	global_load_dwordx2 v[2:3], v26, s[8:9]
	s_add_i32 s18, s12, -8
	s_add_u32 s4, s8, 8
	s_addc_u32 s5, s9, 0
.LBB6_1369:                             ;   in Loop: Header=BB6_1362 Depth=1
	s_cmp_gt_u32 s18, 7
	s_cbranch_scc1 .LBB6_1373
; %bb.1370:                             ;   in Loop: Header=BB6_1362 Depth=1
	s_cmp_eq_u32 s18, 0
	s_cbranch_scc1 .LBB6_1374
; %bb.1371:                             ;   in Loop: Header=BB6_1362 Depth=1
	v_mov_b32_e32 v10, 0
	s_mov_b64 s[14:15], 0
	v_mov_b32_e32 v11, 0
	s_mov_b64 s[16:17], 0
.LBB6_1372:                             ;   Parent Loop BB6_1362 Depth=1
                                        ; =>  This Inner Loop Header: Depth=2
	s_add_u32 s20, s4, s16
	s_addc_u32 s21, s5, s17
	global_load_ubyte v6, v26, s[20:21]
	s_add_u32 s16, s16, 1
	s_addc_u32 s17, s17, 0
	s_waitcnt vmcnt(0)
	v_and_b32_e32 v25, 0xffff, v6
	v_lshlrev_b64 v[6:7], s14, v[25:26]
	s_add_u32 s14, s14, 8
	s_addc_u32 s15, s15, 0
	v_or_b32_e32 v10, v6, v10
	s_cmp_lg_u32 s18, s16
	v_or_b32_e32 v11, v7, v11
	s_cbranch_scc1 .LBB6_1372
	s_branch .LBB6_1375
.LBB6_1373:                             ;   in Loop: Header=BB6_1362 Depth=1
                                        ; implicit-def: $vgpr10_vgpr11
                                        ; implicit-def: $sgpr19
	s_branch .LBB6_1376
.LBB6_1374:                             ;   in Loop: Header=BB6_1362 Depth=1
	v_mov_b32_e32 v10, 0
	v_mov_b32_e32 v11, 0
.LBB6_1375:                             ;   in Loop: Header=BB6_1362 Depth=1
	s_mov_b32 s19, 0
	s_cbranch_execnz .LBB6_1377
.LBB6_1376:                             ;   in Loop: Header=BB6_1362 Depth=1
	global_load_dwordx2 v[10:11], v26, s[4:5]
	s_add_i32 s19, s18, -8
	s_add_u32 s4, s4, 8
	s_addc_u32 s5, s5, 0
.LBB6_1377:                             ;   in Loop: Header=BB6_1362 Depth=1
	s_cmp_gt_u32 s19, 7
	s_cbranch_scc1 .LBB6_1381
; %bb.1378:                             ;   in Loop: Header=BB6_1362 Depth=1
	s_cmp_eq_u32 s19, 0
	s_cbranch_scc1 .LBB6_1382
; %bb.1379:                             ;   in Loop: Header=BB6_1362 Depth=1
	v_mov_b32_e32 v12, 0
	s_mov_b64 s[14:15], 0
	v_mov_b32_e32 v13, 0
	s_mov_b64 s[16:17], 0
.LBB6_1380:                             ;   Parent Loop BB6_1362 Depth=1
                                        ; =>  This Inner Loop Header: Depth=2
	s_add_u32 s20, s4, s16
	s_addc_u32 s21, s5, s17
	global_load_ubyte v6, v26, s[20:21]
	s_add_u32 s16, s16, 1
	s_addc_u32 s17, s17, 0
	s_waitcnt vmcnt(0)
	v_and_b32_e32 v25, 0xffff, v6
	v_lshlrev_b64 v[6:7], s14, v[25:26]
	s_add_u32 s14, s14, 8
	s_addc_u32 s15, s15, 0
	v_or_b32_e32 v12, v6, v12
	s_cmp_lg_u32 s19, s16
	v_or_b32_e32 v13, v7, v13
	s_cbranch_scc1 .LBB6_1380
	s_branch .LBB6_1383
.LBB6_1381:                             ;   in Loop: Header=BB6_1362 Depth=1
                                        ; implicit-def: $sgpr18
	s_branch .LBB6_1384
.LBB6_1382:                             ;   in Loop: Header=BB6_1362 Depth=1
	v_mov_b32_e32 v12, 0
	v_mov_b32_e32 v13, 0
.LBB6_1383:                             ;   in Loop: Header=BB6_1362 Depth=1
	s_mov_b32 s18, 0
	s_cbranch_execnz .LBB6_1385
.LBB6_1384:                             ;   in Loop: Header=BB6_1362 Depth=1
	global_load_dwordx2 v[12:13], v26, s[4:5]
	s_add_i32 s18, s19, -8
	s_add_u32 s4, s4, 8
	s_addc_u32 s5, s5, 0
.LBB6_1385:                             ;   in Loop: Header=BB6_1362 Depth=1
	s_cmp_gt_u32 s18, 7
	s_cbranch_scc1 .LBB6_1389
; %bb.1386:                             ;   in Loop: Header=BB6_1362 Depth=1
	s_cmp_eq_u32 s18, 0
	s_cbranch_scc1 .LBB6_1390
; %bb.1387:                             ;   in Loop: Header=BB6_1362 Depth=1
	v_mov_b32_e32 v14, 0
	s_mov_b64 s[14:15], 0
	v_mov_b32_e32 v15, 0
	s_mov_b64 s[16:17], 0
.LBB6_1388:                             ;   Parent Loop BB6_1362 Depth=1
                                        ; =>  This Inner Loop Header: Depth=2
	s_add_u32 s20, s4, s16
	s_addc_u32 s21, s5, s17
	global_load_ubyte v6, v26, s[20:21]
	s_add_u32 s16, s16, 1
	s_addc_u32 s17, s17, 0
	s_waitcnt vmcnt(0)
	v_and_b32_e32 v25, 0xffff, v6
	v_lshlrev_b64 v[6:7], s14, v[25:26]
	s_add_u32 s14, s14, 8
	s_addc_u32 s15, s15, 0
	v_or_b32_e32 v14, v6, v14
	s_cmp_lg_u32 s18, s16
	v_or_b32_e32 v15, v7, v15
	s_cbranch_scc1 .LBB6_1388
	s_branch .LBB6_1391
.LBB6_1389:                             ;   in Loop: Header=BB6_1362 Depth=1
                                        ; implicit-def: $vgpr14_vgpr15
                                        ; implicit-def: $sgpr19
	s_branch .LBB6_1392
.LBB6_1390:                             ;   in Loop: Header=BB6_1362 Depth=1
	v_mov_b32_e32 v14, 0
	v_mov_b32_e32 v15, 0
.LBB6_1391:                             ;   in Loop: Header=BB6_1362 Depth=1
	s_mov_b32 s19, 0
	s_cbranch_execnz .LBB6_1393
.LBB6_1392:                             ;   in Loop: Header=BB6_1362 Depth=1
	global_load_dwordx2 v[14:15], v26, s[4:5]
	s_add_i32 s19, s18, -8
	s_add_u32 s4, s4, 8
	s_addc_u32 s5, s5, 0
.LBB6_1393:                             ;   in Loop: Header=BB6_1362 Depth=1
	s_cmp_gt_u32 s19, 7
	s_cbranch_scc1 .LBB6_1397
; %bb.1394:                             ;   in Loop: Header=BB6_1362 Depth=1
	s_cmp_eq_u32 s19, 0
	s_cbranch_scc1 .LBB6_1398
; %bb.1395:                             ;   in Loop: Header=BB6_1362 Depth=1
	v_mov_b32_e32 v16, 0
	s_mov_b64 s[14:15], 0
	v_mov_b32_e32 v17, 0
	s_mov_b64 s[16:17], 0
.LBB6_1396:                             ;   Parent Loop BB6_1362 Depth=1
                                        ; =>  This Inner Loop Header: Depth=2
	s_add_u32 s20, s4, s16
	s_addc_u32 s21, s5, s17
	global_load_ubyte v6, v26, s[20:21]
	s_add_u32 s16, s16, 1
	s_addc_u32 s17, s17, 0
	s_waitcnt vmcnt(0)
	v_and_b32_e32 v25, 0xffff, v6
	v_lshlrev_b64 v[6:7], s14, v[25:26]
	s_add_u32 s14, s14, 8
	s_addc_u32 s15, s15, 0
	v_or_b32_e32 v16, v6, v16
	s_cmp_lg_u32 s19, s16
	v_or_b32_e32 v17, v7, v17
	s_cbranch_scc1 .LBB6_1396
	s_branch .LBB6_1399
.LBB6_1397:                             ;   in Loop: Header=BB6_1362 Depth=1
                                        ; implicit-def: $sgpr18
	s_branch .LBB6_1400
.LBB6_1398:                             ;   in Loop: Header=BB6_1362 Depth=1
	v_mov_b32_e32 v16, 0
	v_mov_b32_e32 v17, 0
.LBB6_1399:                             ;   in Loop: Header=BB6_1362 Depth=1
	s_mov_b32 s18, 0
	s_cbranch_execnz .LBB6_1401
.LBB6_1400:                             ;   in Loop: Header=BB6_1362 Depth=1
	global_load_dwordx2 v[16:17], v26, s[4:5]
	s_add_i32 s18, s19, -8
	s_add_u32 s4, s4, 8
	s_addc_u32 s5, s5, 0
.LBB6_1401:                             ;   in Loop: Header=BB6_1362 Depth=1
	s_cmp_gt_u32 s18, 7
	s_cbranch_scc1 .LBB6_1405
; %bb.1402:                             ;   in Loop: Header=BB6_1362 Depth=1
	s_cmp_eq_u32 s18, 0
	s_cbranch_scc1 .LBB6_1406
; %bb.1403:                             ;   in Loop: Header=BB6_1362 Depth=1
	v_mov_b32_e32 v18, 0
	s_mov_b64 s[14:15], 0
	v_mov_b32_e32 v19, 0
	s_mov_b64 s[16:17], 0
.LBB6_1404:                             ;   Parent Loop BB6_1362 Depth=1
                                        ; =>  This Inner Loop Header: Depth=2
	s_add_u32 s20, s4, s16
	s_addc_u32 s21, s5, s17
	global_load_ubyte v6, v26, s[20:21]
	s_add_u32 s16, s16, 1
	s_addc_u32 s17, s17, 0
	s_waitcnt vmcnt(0)
	v_and_b32_e32 v25, 0xffff, v6
	v_lshlrev_b64 v[6:7], s14, v[25:26]
	s_add_u32 s14, s14, 8
	s_addc_u32 s15, s15, 0
	v_or_b32_e32 v18, v6, v18
	s_cmp_lg_u32 s18, s16
	v_or_b32_e32 v19, v7, v19
	s_cbranch_scc1 .LBB6_1404
	s_branch .LBB6_1407
.LBB6_1405:                             ;   in Loop: Header=BB6_1362 Depth=1
                                        ; implicit-def: $vgpr18_vgpr19
                                        ; implicit-def: $sgpr19
	s_branch .LBB6_1408
.LBB6_1406:                             ;   in Loop: Header=BB6_1362 Depth=1
	v_mov_b32_e32 v18, 0
	v_mov_b32_e32 v19, 0
.LBB6_1407:                             ;   in Loop: Header=BB6_1362 Depth=1
	s_mov_b32 s19, 0
	s_cbranch_execnz .LBB6_1409
.LBB6_1408:                             ;   in Loop: Header=BB6_1362 Depth=1
	global_load_dwordx2 v[18:19], v26, s[4:5]
	s_add_i32 s19, s18, -8
	s_add_u32 s4, s4, 8
	s_addc_u32 s5, s5, 0
.LBB6_1409:                             ;   in Loop: Header=BB6_1362 Depth=1
	s_cmp_gt_u32 s19, 7
	s_cbranch_scc1 .LBB6_1413
; %bb.1410:                             ;   in Loop: Header=BB6_1362 Depth=1
	s_cmp_eq_u32 s19, 0
	s_cbranch_scc1 .LBB6_1414
; %bb.1411:                             ;   in Loop: Header=BB6_1362 Depth=1
	v_mov_b32_e32 v20, 0
	s_mov_b64 s[14:15], 0
	v_mov_b32_e32 v21, 0
	s_mov_b64 s[16:17], s[4:5]
.LBB6_1412:                             ;   Parent Loop BB6_1362 Depth=1
                                        ; =>  This Inner Loop Header: Depth=2
	global_load_ubyte v6, v26, s[16:17]
	s_add_i32 s19, s19, -1
	s_waitcnt vmcnt(0)
	v_and_b32_e32 v25, 0xffff, v6
	v_lshlrev_b64 v[6:7], s14, v[25:26]
	s_add_u32 s14, s14, 8
	s_addc_u32 s15, s15, 0
	s_add_u32 s16, s16, 1
	s_addc_u32 s17, s17, 0
	v_or_b32_e32 v20, v6, v20
	s_cmp_lg_u32 s19, 0
	v_or_b32_e32 v21, v7, v21
	s_cbranch_scc1 .LBB6_1412
	s_branch .LBB6_1415
.LBB6_1413:                             ;   in Loop: Header=BB6_1362 Depth=1
	s_branch .LBB6_1416
.LBB6_1414:                             ;   in Loop: Header=BB6_1362 Depth=1
	v_mov_b32_e32 v20, 0
	v_mov_b32_e32 v21, 0
.LBB6_1415:                             ;   in Loop: Header=BB6_1362 Depth=1
	s_cbranch_execnz .LBB6_1417
.LBB6_1416:                             ;   in Loop: Header=BB6_1362 Depth=1
	global_load_dwordx2 v[20:21], v26, s[4:5]
.LBB6_1417:                             ;   in Loop: Header=BB6_1362 Depth=1
	v_readfirstlane_b32 s4, v32
	v_mov_b32_e32 v6, 0
	v_mov_b32_e32 v7, 0
	v_cmp_eq_u32_e64 s[4:5], s4, v32
	s_and_saveexec_b64 s[14:15], s[4:5]
	s_cbranch_execz .LBB6_1423
; %bb.1418:                             ;   in Loop: Header=BB6_1362 Depth=1
	global_load_dwordx2 v[24:25], v26, s[6:7] offset:24 glc
	s_waitcnt vmcnt(0)
	buffer_wbinvl1_vol
	global_load_dwordx2 v[6:7], v26, s[6:7] offset:40
	global_load_dwordx2 v[22:23], v26, s[6:7]
	s_waitcnt vmcnt(1)
	v_and_b32_e32 v6, v6, v24
	v_and_b32_e32 v7, v7, v25
	v_mul_lo_u32 v7, v7, 24
	v_mul_hi_u32 v27, v6, 24
	v_mul_lo_u32 v6, v6, 24
	v_add_u32_e32 v7, v27, v7
	s_waitcnt vmcnt(0)
	v_add_co_u32_e32 v6, vcc, v22, v6
	v_addc_co_u32_e32 v7, vcc, v23, v7, vcc
	global_load_dwordx2 v[22:23], v[6:7], off glc
	s_waitcnt vmcnt(0)
	global_atomic_cmpswap_x2 v[6:7], v26, v[22:25], s[6:7] offset:24 glc
	s_waitcnt vmcnt(0)
	buffer_wbinvl1_vol
	v_cmp_ne_u64_e32 vcc, v[6:7], v[24:25]
	s_and_saveexec_b64 s[16:17], vcc
	s_cbranch_execz .LBB6_1422
; %bb.1419:                             ;   in Loop: Header=BB6_1362 Depth=1
	s_mov_b64 s[18:19], 0
.LBB6_1420:                             ;   Parent Loop BB6_1362 Depth=1
                                        ; =>  This Inner Loop Header: Depth=2
	s_sleep 1
	global_load_dwordx2 v[22:23], v26, s[6:7] offset:40
	global_load_dwordx2 v[27:28], v26, s[6:7]
	v_mov_b32_e32 v25, v7
	v_mov_b32_e32 v24, v6
	s_waitcnt vmcnt(1)
	v_and_b32_e32 v6, v22, v24
	s_waitcnt vmcnt(0)
	v_mad_u64_u32 v[6:7], s[20:21], v6, 24, v[27:28]
	v_and_b32_e32 v22, v23, v25
	v_mad_u64_u32 v[22:23], s[20:21], v22, 24, v[7:8]
	v_mov_b32_e32 v7, v22
	global_load_dwordx2 v[22:23], v[6:7], off glc
	s_waitcnt vmcnt(0)
	global_atomic_cmpswap_x2 v[6:7], v26, v[22:25], s[6:7] offset:24 glc
	s_waitcnt vmcnt(0)
	buffer_wbinvl1_vol
	v_cmp_eq_u64_e32 vcc, v[6:7], v[24:25]
	s_or_b64 s[18:19], vcc, s[18:19]
	s_andn2_b64 exec, exec, s[18:19]
	s_cbranch_execnz .LBB6_1420
; %bb.1421:                             ;   in Loop: Header=BB6_1362 Depth=1
	s_or_b64 exec, exec, s[18:19]
.LBB6_1422:                             ;   in Loop: Header=BB6_1362 Depth=1
	s_or_b64 exec, exec, s[16:17]
.LBB6_1423:                             ;   in Loop: Header=BB6_1362 Depth=1
	s_or_b64 exec, exec, s[14:15]
	global_load_dwordx2 v[27:28], v26, s[6:7] offset:40
	global_load_dwordx4 v[22:25], v26, s[6:7]
	v_readfirstlane_b32 s14, v6
	v_readfirstlane_b32 s15, v7
	s_mov_b64 s[18:19], exec
	s_waitcnt vmcnt(1)
	v_readfirstlane_b32 s16, v27
	v_readfirstlane_b32 s17, v28
	s_and_b64 s[16:17], s[14:15], s[16:17]
	s_mul_i32 s20, s17, 24
	s_mul_hi_u32 s21, s16, 24
	s_mul_i32 s22, s16, 24
	s_add_i32 s20, s21, s20
	v_mov_b32_e32 v6, s20
	s_waitcnt vmcnt(0)
	v_add_co_u32_e32 v27, vcc, s22, v22
	v_addc_co_u32_e32 v28, vcc, v23, v6, vcc
	s_and_saveexec_b64 s[20:21], s[4:5]
	s_cbranch_execz .LBB6_1425
; %bb.1424:                             ;   in Loop: Header=BB6_1362 Depth=1
	v_mov_b32_e32 v6, s18
	v_mov_b32_e32 v7, s19
	global_store_dwordx4 v[27:28], v[6:9], off offset:8
.LBB6_1425:                             ;   in Loop: Header=BB6_1362 Depth=1
	s_or_b64 exec, exec, s[20:21]
	v_cmp_gt_u64_e64 vcc, s[10:11], 56
	v_or_b32_e32 v6, 0, v1
	v_cndmask_b32_e32 v1, v6, v1, vcc
	v_or_b32_e32 v6, v0, v29
	s_lshl_b32 s18, s12, 2
	s_lshl_b64 s[16:17], s[16:17], 12
	v_cndmask_b32_e32 v0, v6, v0, vcc
	s_add_i32 s18, s18, 28
	v_mov_b32_e32 v6, s17
	v_add_co_u32_e32 v24, vcc, s16, v24
	s_and_b32 s18, s18, 0x1e0
	v_and_b32_e32 v0, 0xffffff1f, v0
	v_addc_co_u32_e32 v30, vcc, v25, v6, vcc
	v_or_b32_e32 v0, s18, v0
	v_readfirstlane_b32 s16, v24
	v_readfirstlane_b32 s17, v30
	s_nop 4
	global_store_dwordx4 v31, v[0:3], s[16:17]
	global_store_dwordx4 v31, v[10:13], s[16:17] offset:16
	global_store_dwordx4 v31, v[14:17], s[16:17] offset:32
	;; [unrolled: 1-line block ×3, first 2 shown]
	s_and_saveexec_b64 s[16:17], s[4:5]
	s_cbranch_execz .LBB6_1433
; %bb.1426:                             ;   in Loop: Header=BB6_1362 Depth=1
	global_load_dwordx2 v[12:13], v26, s[6:7] offset:32 glc
	global_load_dwordx2 v[0:1], v26, s[6:7] offset:40
	v_mov_b32_e32 v10, s14
	v_mov_b32_e32 v11, s15
	s_waitcnt vmcnt(0)
	v_readfirstlane_b32 s18, v0
	v_readfirstlane_b32 s19, v1
	s_and_b64 s[18:19], s[18:19], s[14:15]
	s_mul_i32 s19, s19, 24
	s_mul_hi_u32 s20, s18, 24
	s_mul_i32 s18, s18, 24
	s_add_i32 s19, s20, s19
	v_mov_b32_e32 v0, s19
	v_add_co_u32_e32 v6, vcc, s18, v22
	v_addc_co_u32_e32 v7, vcc, v23, v0, vcc
	global_store_dwordx2 v[6:7], v[12:13], off
	s_waitcnt vmcnt(0)
	global_atomic_cmpswap_x2 v[2:3], v26, v[10:13], s[6:7] offset:32 glc
	s_waitcnt vmcnt(0)
	v_cmp_ne_u64_e32 vcc, v[2:3], v[12:13]
	s_and_saveexec_b64 s[18:19], vcc
	s_cbranch_execz .LBB6_1429
; %bb.1427:                             ;   in Loop: Header=BB6_1362 Depth=1
	s_mov_b64 s[20:21], 0
.LBB6_1428:                             ;   Parent Loop BB6_1362 Depth=1
                                        ; =>  This Inner Loop Header: Depth=2
	s_sleep 1
	global_store_dwordx2 v[6:7], v[2:3], off
	v_mov_b32_e32 v0, s14
	v_mov_b32_e32 v1, s15
	s_waitcnt vmcnt(0)
	global_atomic_cmpswap_x2 v[0:1], v26, v[0:3], s[6:7] offset:32 glc
	s_waitcnt vmcnt(0)
	v_cmp_eq_u64_e32 vcc, v[0:1], v[2:3]
	v_mov_b32_e32 v3, v1
	s_or_b64 s[20:21], vcc, s[20:21]
	v_mov_b32_e32 v2, v0
	s_andn2_b64 exec, exec, s[20:21]
	s_cbranch_execnz .LBB6_1428
.LBB6_1429:                             ;   in Loop: Header=BB6_1362 Depth=1
	s_or_b64 exec, exec, s[18:19]
	global_load_dwordx2 v[0:1], v26, s[6:7] offset:16
	s_mov_b64 s[20:21], exec
	v_mbcnt_lo_u32_b32 v2, s20, 0
	v_mbcnt_hi_u32_b32 v2, s21, v2
	v_cmp_eq_u32_e32 vcc, 0, v2
	s_and_saveexec_b64 s[18:19], vcc
	s_cbranch_execz .LBB6_1431
; %bb.1430:                             ;   in Loop: Header=BB6_1362 Depth=1
	s_bcnt1_i32_b64 s20, s[20:21]
	v_mov_b32_e32 v25, s20
	s_waitcnt vmcnt(0)
	global_atomic_add_x2 v[0:1], v[25:26], off offset:8
.LBB6_1431:                             ;   in Loop: Header=BB6_1362 Depth=1
	s_or_b64 exec, exec, s[18:19]
	s_waitcnt vmcnt(0)
	global_load_dwordx2 v[2:3], v[0:1], off offset:16
	s_waitcnt vmcnt(0)
	v_cmp_eq_u64_e32 vcc, 0, v[2:3]
	s_cbranch_vccnz .LBB6_1433
; %bb.1432:                             ;   in Loop: Header=BB6_1362 Depth=1
	global_load_dword v25, v[0:1], off offset:24
	s_waitcnt vmcnt(0)
	v_and_b32_e32 v0, 0xffffff, v25
	v_readfirstlane_b32 m0, v0
	global_store_dwordx2 v[2:3], v[25:26], off
	s_sendmsg sendmsg(MSG_INTERRUPT)
.LBB6_1433:                             ;   in Loop: Header=BB6_1362 Depth=1
	s_or_b64 exec, exec, s[16:17]
	v_add_co_u32_e32 v0, vcc, v24, v31
	v_addc_co_u32_e32 v1, vcc, 0, v30, vcc
	s_branch .LBB6_1437
.LBB6_1434:                             ;   in Loop: Header=BB6_1437 Depth=2
	s_or_b64 exec, exec, s[16:17]
	v_readfirstlane_b32 s16, v2
	s_cmp_eq_u32 s16, 0
	s_cbranch_scc1 .LBB6_1436
; %bb.1435:                             ;   in Loop: Header=BB6_1437 Depth=2
	s_sleep 1
	s_cbranch_execnz .LBB6_1437
	s_branch .LBB6_1439
.LBB6_1436:                             ;   in Loop: Header=BB6_1362 Depth=1
	s_branch .LBB6_1439
.LBB6_1437:                             ;   Parent Loop BB6_1362 Depth=1
                                        ; =>  This Inner Loop Header: Depth=2
	v_mov_b32_e32 v2, 1
	s_and_saveexec_b64 s[16:17], s[4:5]
	s_cbranch_execz .LBB6_1434
; %bb.1438:                             ;   in Loop: Header=BB6_1437 Depth=2
	global_load_dword v2, v[27:28], off offset:20 glc
	s_waitcnt vmcnt(0)
	buffer_wbinvl1_vol
	v_and_b32_e32 v2, 1, v2
	s_branch .LBB6_1434
.LBB6_1439:                             ;   in Loop: Header=BB6_1362 Depth=1
	global_load_dwordx4 v[0:3], v[0:1], off
	s_and_saveexec_b64 s[16:17], s[4:5]
	s_cbranch_execz .LBB6_1361
; %bb.1440:                             ;   in Loop: Header=BB6_1362 Depth=1
	global_load_dwordx2 v[2:3], v26, s[6:7] offset:40
	global_load_dwordx2 v[6:7], v26, s[6:7] offset:24 glc
	global_load_dwordx2 v[13:14], v26, s[6:7]
	v_mov_b32_e32 v11, s15
	s_waitcnt vmcnt(2)
	v_add_co_u32_e32 v12, vcc, 1, v2
	v_addc_co_u32_e32 v15, vcc, 0, v3, vcc
	v_add_co_u32_e32 v10, vcc, s14, v12
	v_addc_co_u32_e32 v11, vcc, v15, v11, vcc
	v_cmp_eq_u64_e32 vcc, 0, v[10:11]
	v_cndmask_b32_e32 v11, v11, v15, vcc
	v_cndmask_b32_e32 v10, v10, v12, vcc
	v_and_b32_e32 v3, v11, v3
	v_and_b32_e32 v2, v10, v2
	v_mul_lo_u32 v3, v3, 24
	v_mul_hi_u32 v15, v2, 24
	v_mul_lo_u32 v2, v2, 24
	s_waitcnt vmcnt(1)
	v_mov_b32_e32 v12, v6
	v_add_u32_e32 v3, v15, v3
	s_waitcnt vmcnt(0)
	v_add_co_u32_e32 v2, vcc, v13, v2
	v_addc_co_u32_e32 v3, vcc, v14, v3, vcc
	global_store_dwordx2 v[2:3], v[6:7], off
	v_mov_b32_e32 v13, v7
	s_waitcnt vmcnt(0)
	global_atomic_cmpswap_x2 v[12:13], v26, v[10:13], s[6:7] offset:24 glc
	s_waitcnt vmcnt(0)
	v_cmp_ne_u64_e32 vcc, v[12:13], v[6:7]
	s_and_b64 exec, exec, vcc
	s_cbranch_execz .LBB6_1361
; %bb.1441:                             ;   in Loop: Header=BB6_1362 Depth=1
	s_mov_b64 s[4:5], 0
.LBB6_1442:                             ;   Parent Loop BB6_1362 Depth=1
                                        ; =>  This Inner Loop Header: Depth=2
	s_sleep 1
	global_store_dwordx2 v[2:3], v[12:13], off
	s_waitcnt vmcnt(0)
	global_atomic_cmpswap_x2 v[6:7], v26, v[10:13], s[6:7] offset:24 glc
	s_waitcnt vmcnt(0)
	v_cmp_eq_u64_e32 vcc, v[6:7], v[12:13]
	v_mov_b32_e32 v13, v7
	s_or_b64 s[4:5], vcc, s[4:5]
	v_mov_b32_e32 v12, v6
	s_andn2_b64 exec, exec, s[4:5]
	s_cbranch_execnz .LBB6_1442
	s_branch .LBB6_1361
.LBB6_1443:
	s_branch .LBB6_1471
.LBB6_1444:
                                        ; implicit-def: $vgpr0_vgpr1
	s_cbranch_execz .LBB6_1471
; %bb.1445:
	v_readfirstlane_b32 s4, v32
	v_mov_b32_e32 v7, 0
	v_mov_b32_e32 v8, 0
	v_cmp_eq_u32_e64 s[4:5], s4, v32
	s_and_saveexec_b64 s[8:9], s[4:5]
	s_cbranch_execz .LBB6_1451
; %bb.1446:
	s_waitcnt vmcnt(0)
	v_mov_b32_e32 v0, 0
	global_load_dwordx2 v[9:10], v0, s[6:7] offset:24 glc
	s_waitcnt vmcnt(0)
	buffer_wbinvl1_vol
	global_load_dwordx2 v[1:2], v0, s[6:7] offset:40
	global_load_dwordx2 v[6:7], v0, s[6:7]
	s_waitcnt vmcnt(1)
	v_and_b32_e32 v1, v1, v9
	v_and_b32_e32 v2, v2, v10
	v_mul_lo_u32 v2, v2, 24
	v_mul_hi_u32 v3, v1, 24
	v_mul_lo_u32 v1, v1, 24
	v_add_u32_e32 v2, v3, v2
	s_waitcnt vmcnt(0)
	v_add_co_u32_e32 v1, vcc, v6, v1
	v_addc_co_u32_e32 v2, vcc, v7, v2, vcc
	global_load_dwordx2 v[7:8], v[1:2], off glc
	s_waitcnt vmcnt(0)
	global_atomic_cmpswap_x2 v[7:8], v0, v[7:10], s[6:7] offset:24 glc
	s_waitcnt vmcnt(0)
	buffer_wbinvl1_vol
	v_cmp_ne_u64_e32 vcc, v[7:8], v[9:10]
	s_and_saveexec_b64 s[10:11], vcc
	s_cbranch_execz .LBB6_1450
; %bb.1447:
	s_mov_b64 s[12:13], 0
.LBB6_1448:                             ; =>This Inner Loop Header: Depth=1
	s_sleep 1
	global_load_dwordx2 v[1:2], v0, s[6:7] offset:40
	global_load_dwordx2 v[11:12], v0, s[6:7]
	v_mov_b32_e32 v10, v8
	v_mov_b32_e32 v9, v7
	s_waitcnt vmcnt(1)
	v_and_b32_e32 v1, v1, v9
	s_waitcnt vmcnt(0)
	v_mad_u64_u32 v[6:7], s[14:15], v1, 24, v[11:12]
	v_and_b32_e32 v2, v2, v10
	v_mov_b32_e32 v1, v7
	v_mad_u64_u32 v[1:2], s[14:15], v2, 24, v[1:2]
	v_mov_b32_e32 v7, v1
	global_load_dwordx2 v[7:8], v[6:7], off glc
	s_waitcnt vmcnt(0)
	global_atomic_cmpswap_x2 v[7:8], v0, v[7:10], s[6:7] offset:24 glc
	s_waitcnt vmcnt(0)
	buffer_wbinvl1_vol
	v_cmp_eq_u64_e32 vcc, v[7:8], v[9:10]
	s_or_b64 s[12:13], vcc, s[12:13]
	s_andn2_b64 exec, exec, s[12:13]
	s_cbranch_execnz .LBB6_1448
; %bb.1449:
	s_or_b64 exec, exec, s[12:13]
.LBB6_1450:
	s_or_b64 exec, exec, s[10:11]
.LBB6_1451:
	s_or_b64 exec, exec, s[8:9]
	v_mov_b32_e32 v6, 0
	global_load_dwordx2 v[9:10], v6, s[6:7] offset:40
	global_load_dwordx4 v[0:3], v6, s[6:7]
	v_readfirstlane_b32 s8, v7
	v_readfirstlane_b32 s9, v8
	s_mov_b64 s[10:11], exec
	s_waitcnt vmcnt(1)
	v_readfirstlane_b32 s12, v9
	v_readfirstlane_b32 s13, v10
	s_and_b64 s[12:13], s[8:9], s[12:13]
	s_mul_i32 s14, s13, 24
	s_mul_hi_u32 s15, s12, 24
	s_mul_i32 s16, s12, 24
	s_add_i32 s14, s15, s14
	v_mov_b32_e32 v7, s14
	s_waitcnt vmcnt(0)
	v_add_co_u32_e32 v8, vcc, s16, v0
	v_addc_co_u32_e32 v9, vcc, v1, v7, vcc
	s_and_saveexec_b64 s[14:15], s[4:5]
	s_cbranch_execz .LBB6_1453
; %bb.1452:
	v_mov_b32_e32 v10, s10
	v_mov_b32_e32 v11, s11
	;; [unrolled: 1-line block ×4, first 2 shown]
	global_store_dwordx4 v[8:9], v[10:13], off offset:8
.LBB6_1453:
	s_or_b64 exec, exec, s[14:15]
	s_lshl_b64 s[10:11], s[12:13], 12
	v_mov_b32_e32 v7, s11
	v_add_co_u32_e32 v2, vcc, s10, v2
	v_addc_co_u32_e32 v3, vcc, v3, v7, vcc
	s_movk_i32 s10, 0xff1f
	v_and_or_b32 v4, v4, s10, 32
	v_add_co_u32_e32 v10, vcc, v2, v31
	s_mov_b32 s12, 0
	v_mov_b32_e32 v7, v6
	v_readfirstlane_b32 s10, v2
	v_readfirstlane_b32 s11, v3
	v_addc_co_u32_e32 v11, vcc, 0, v3, vcc
	s_mov_b32 s13, s12
	s_mov_b32 s14, s12
	;; [unrolled: 1-line block ×3, first 2 shown]
	s_nop 0
	global_store_dwordx4 v31, v[4:7], s[10:11]
	v_mov_b32_e32 v2, s12
	v_mov_b32_e32 v3, s13
	;; [unrolled: 1-line block ×4, first 2 shown]
	global_store_dwordx4 v31, v[2:5], s[10:11] offset:16
	global_store_dwordx4 v31, v[2:5], s[10:11] offset:32
	global_store_dwordx4 v31, v[2:5], s[10:11] offset:48
	s_and_saveexec_b64 s[10:11], s[4:5]
	s_cbranch_execz .LBB6_1461
; %bb.1454:
	v_mov_b32_e32 v6, 0
	global_load_dwordx2 v[14:15], v6, s[6:7] offset:32 glc
	global_load_dwordx2 v[2:3], v6, s[6:7] offset:40
	v_mov_b32_e32 v12, s8
	v_mov_b32_e32 v13, s9
	s_waitcnt vmcnt(0)
	v_readfirstlane_b32 s12, v2
	v_readfirstlane_b32 s13, v3
	s_and_b64 s[12:13], s[12:13], s[8:9]
	s_mul_i32 s13, s13, 24
	s_mul_hi_u32 s14, s12, 24
	s_mul_i32 s12, s12, 24
	s_add_i32 s13, s14, s13
	v_mov_b32_e32 v2, s13
	v_add_co_u32_e32 v4, vcc, s12, v0
	v_addc_co_u32_e32 v5, vcc, v1, v2, vcc
	global_store_dwordx2 v[4:5], v[14:15], off
	s_waitcnt vmcnt(0)
	global_atomic_cmpswap_x2 v[2:3], v6, v[12:15], s[6:7] offset:32 glc
	s_waitcnt vmcnt(0)
	v_cmp_ne_u64_e32 vcc, v[2:3], v[14:15]
	s_and_saveexec_b64 s[12:13], vcc
	s_cbranch_execz .LBB6_1457
; %bb.1455:
	s_mov_b64 s[14:15], 0
.LBB6_1456:                             ; =>This Inner Loop Header: Depth=1
	s_sleep 1
	global_store_dwordx2 v[4:5], v[2:3], off
	v_mov_b32_e32 v0, s8
	v_mov_b32_e32 v1, s9
	s_waitcnt vmcnt(0)
	global_atomic_cmpswap_x2 v[0:1], v6, v[0:3], s[6:7] offset:32 glc
	s_waitcnt vmcnt(0)
	v_cmp_eq_u64_e32 vcc, v[0:1], v[2:3]
	v_mov_b32_e32 v3, v1
	s_or_b64 s[14:15], vcc, s[14:15]
	v_mov_b32_e32 v2, v0
	s_andn2_b64 exec, exec, s[14:15]
	s_cbranch_execnz .LBB6_1456
.LBB6_1457:
	s_or_b64 exec, exec, s[12:13]
	v_mov_b32_e32 v3, 0
	global_load_dwordx2 v[0:1], v3, s[6:7] offset:16
	s_mov_b64 s[12:13], exec
	v_mbcnt_lo_u32_b32 v2, s12, 0
	v_mbcnt_hi_u32_b32 v2, s13, v2
	v_cmp_eq_u32_e32 vcc, 0, v2
	s_and_saveexec_b64 s[14:15], vcc
	s_cbranch_execz .LBB6_1459
; %bb.1458:
	s_bcnt1_i32_b64 s12, s[12:13]
	v_mov_b32_e32 v2, s12
	s_waitcnt vmcnt(0)
	global_atomic_add_x2 v[0:1], v[2:3], off offset:8
.LBB6_1459:
	s_or_b64 exec, exec, s[14:15]
	s_waitcnt vmcnt(0)
	global_load_dwordx2 v[2:3], v[0:1], off offset:16
	s_waitcnt vmcnt(0)
	v_cmp_eq_u64_e32 vcc, 0, v[2:3]
	s_cbranch_vccnz .LBB6_1461
; %bb.1460:
	global_load_dword v0, v[0:1], off offset:24
	v_mov_b32_e32 v1, 0
	s_waitcnt vmcnt(0)
	global_store_dwordx2 v[2:3], v[0:1], off
	v_and_b32_e32 v0, 0xffffff, v0
	v_readfirstlane_b32 m0, v0
	s_sendmsg sendmsg(MSG_INTERRUPT)
.LBB6_1461:
	s_or_b64 exec, exec, s[10:11]
	s_branch .LBB6_1465
.LBB6_1462:                             ;   in Loop: Header=BB6_1465 Depth=1
	s_or_b64 exec, exec, s[10:11]
	v_readfirstlane_b32 s10, v0
	s_cmp_eq_u32 s10, 0
	s_cbranch_scc1 .LBB6_1464
; %bb.1463:                             ;   in Loop: Header=BB6_1465 Depth=1
	s_sleep 1
	s_cbranch_execnz .LBB6_1465
	s_branch .LBB6_1467
.LBB6_1464:
	s_branch .LBB6_1467
.LBB6_1465:                             ; =>This Inner Loop Header: Depth=1
	v_mov_b32_e32 v0, 1
	s_and_saveexec_b64 s[10:11], s[4:5]
	s_cbranch_execz .LBB6_1462
; %bb.1466:                             ;   in Loop: Header=BB6_1465 Depth=1
	global_load_dword v0, v[8:9], off offset:20 glc
	s_waitcnt vmcnt(0)
	buffer_wbinvl1_vol
	v_and_b32_e32 v0, 1, v0
	s_branch .LBB6_1462
.LBB6_1467:
	global_load_dwordx2 v[0:1], v[10:11], off
	s_and_saveexec_b64 s[10:11], s[4:5]
	s_cbranch_execz .LBB6_1470
; %bb.1468:
	v_mov_b32_e32 v8, 0
	global_load_dwordx2 v[4:5], v8, s[6:7] offset:40
	global_load_dwordx2 v[9:10], v8, s[6:7] offset:24 glc
	global_load_dwordx2 v[6:7], v8, s[6:7]
	v_mov_b32_e32 v3, s9
	s_mov_b64 s[4:5], 0
	s_waitcnt vmcnt(2)
	v_add_co_u32_e32 v11, vcc, 1, v4
	v_addc_co_u32_e32 v12, vcc, 0, v5, vcc
	v_add_co_u32_e32 v2, vcc, s8, v11
	v_addc_co_u32_e32 v3, vcc, v12, v3, vcc
	v_cmp_eq_u64_e32 vcc, 0, v[2:3]
	v_cndmask_b32_e32 v3, v3, v12, vcc
	v_cndmask_b32_e32 v2, v2, v11, vcc
	v_and_b32_e32 v5, v3, v5
	v_and_b32_e32 v4, v2, v4
	v_mul_lo_u32 v5, v5, 24
	v_mul_hi_u32 v11, v4, 24
	v_mul_lo_u32 v12, v4, 24
	s_waitcnt vmcnt(1)
	v_mov_b32_e32 v4, v9
	v_add_u32_e32 v5, v11, v5
	s_waitcnt vmcnt(0)
	v_add_co_u32_e32 v6, vcc, v6, v12
	v_addc_co_u32_e32 v7, vcc, v7, v5, vcc
	global_store_dwordx2 v[6:7], v[9:10], off
	v_mov_b32_e32 v5, v10
	s_waitcnt vmcnt(0)
	global_atomic_cmpswap_x2 v[4:5], v8, v[2:5], s[6:7] offset:24 glc
	s_waitcnt vmcnt(0)
	v_cmp_ne_u64_e32 vcc, v[4:5], v[9:10]
	s_and_b64 exec, exec, vcc
	s_cbranch_execz .LBB6_1470
.LBB6_1469:                             ; =>This Inner Loop Header: Depth=1
	s_sleep 1
	global_store_dwordx2 v[6:7], v[4:5], off
	s_waitcnt vmcnt(0)
	global_atomic_cmpswap_x2 v[9:10], v8, v[2:5], s[6:7] offset:24 glc
	s_waitcnt vmcnt(0)
	v_cmp_eq_u64_e32 vcc, v[9:10], v[4:5]
	v_mov_b32_e32 v4, v9
	s_or_b64 s[4:5], vcc, s[4:5]
	v_mov_b32_e32 v5, v10
	s_andn2_b64 exec, exec, s[4:5]
	s_cbranch_execnz .LBB6_1469
.LBB6_1470:
	s_or_b64 exec, exec, s[10:11]
.LBB6_1471:
	s_getpc_b64 s[8:9]
	s_add_u32 s8, s8, .str.2@rel32@lo+4
	s_addc_u32 s9, s9, .str.2@rel32@hi+12
	s_cmp_lg_u64 s[8:9], 0
	s_cbranch_scc0 .LBB6_1556
; %bb.1472:
	s_waitcnt vmcnt(0)
	v_and_b32_e32 v6, -3, v0
	v_mov_b32_e32 v7, v1
	s_mov_b64 s[10:11], 13
	v_mov_b32_e32 v26, 0
	v_mov_b32_e32 v4, 2
	;; [unrolled: 1-line block ×3, first 2 shown]
	s_branch .LBB6_1474
.LBB6_1473:                             ;   in Loop: Header=BB6_1474 Depth=1
	s_or_b64 exec, exec, s[16:17]
	s_sub_u32 s10, s10, s12
	s_subb_u32 s11, s11, s13
	s_add_u32 s8, s8, s12
	s_addc_u32 s9, s9, s13
	s_cmp_lg_u64 s[10:11], 0
	s_cbranch_scc0 .LBB6_1555
.LBB6_1474:                             ; =>This Loop Header: Depth=1
                                        ;     Child Loop BB6_1477 Depth 2
                                        ;     Child Loop BB6_1484 Depth 2
	;; [unrolled: 1-line block ×11, first 2 shown]
	v_cmp_lt_u64_e64 s[4:5], s[10:11], 56
	v_cmp_gt_u64_e64 s[14:15], s[10:11], 7
	s_and_b64 s[4:5], s[4:5], exec
	s_cselect_b32 s13, s11, 0
	s_cselect_b32 s12, s10, 56
	s_and_b64 vcc, exec, s[14:15]
	s_cbranch_vccnz .LBB6_1479
; %bb.1475:                             ;   in Loop: Header=BB6_1474 Depth=1
	s_waitcnt vmcnt(0)
	v_mov_b32_e32 v8, 0
	s_cmp_eq_u64 s[10:11], 0
	v_mov_b32_e32 v9, 0
	s_mov_b64 s[4:5], 0
	s_cbranch_scc1 .LBB6_1478
; %bb.1476:                             ;   in Loop: Header=BB6_1474 Depth=1
	v_mov_b32_e32 v8, 0
	s_lshl_b64 s[14:15], s[12:13], 3
	s_mov_b64 s[16:17], 0
	v_mov_b32_e32 v9, 0
	s_mov_b64 s[18:19], s[8:9]
.LBB6_1477:                             ;   Parent Loop BB6_1474 Depth=1
                                        ; =>  This Inner Loop Header: Depth=2
	global_load_ubyte v2, v26, s[18:19]
	s_waitcnt vmcnt(0)
	v_and_b32_e32 v25, 0xffff, v2
	v_lshlrev_b64 v[2:3], s16, v[25:26]
	s_add_u32 s16, s16, 8
	s_addc_u32 s17, s17, 0
	s_add_u32 s18, s18, 1
	s_addc_u32 s19, s19, 0
	v_or_b32_e32 v8, v2, v8
	s_cmp_lg_u32 s14, s16
	v_or_b32_e32 v9, v3, v9
	s_cbranch_scc1 .LBB6_1477
.LBB6_1478:                             ;   in Loop: Header=BB6_1474 Depth=1
	s_mov_b32 s18, 0
	s_andn2_b64 vcc, exec, s[4:5]
	s_mov_b64 s[4:5], s[8:9]
	s_cbranch_vccz .LBB6_1480
	s_branch .LBB6_1481
.LBB6_1479:                             ;   in Loop: Header=BB6_1474 Depth=1
                                        ; implicit-def: $sgpr18
	s_mov_b64 s[4:5], s[8:9]
.LBB6_1480:                             ;   in Loop: Header=BB6_1474 Depth=1
	global_load_dwordx2 v[8:9], v26, s[8:9]
	s_add_i32 s18, s12, -8
	s_add_u32 s4, s8, 8
	s_addc_u32 s5, s9, 0
.LBB6_1481:                             ;   in Loop: Header=BB6_1474 Depth=1
	s_cmp_gt_u32 s18, 7
	s_cbranch_scc1 .LBB6_1485
; %bb.1482:                             ;   in Loop: Header=BB6_1474 Depth=1
	s_cmp_eq_u32 s18, 0
	s_cbranch_scc1 .LBB6_1486
; %bb.1483:                             ;   in Loop: Header=BB6_1474 Depth=1
	v_mov_b32_e32 v10, 0
	s_mov_b64 s[14:15], 0
	v_mov_b32_e32 v11, 0
	s_mov_b64 s[16:17], 0
.LBB6_1484:                             ;   Parent Loop BB6_1474 Depth=1
                                        ; =>  This Inner Loop Header: Depth=2
	s_add_u32 s20, s4, s16
	s_addc_u32 s21, s5, s17
	global_load_ubyte v2, v26, s[20:21]
	s_add_u32 s16, s16, 1
	s_addc_u32 s17, s17, 0
	s_waitcnt vmcnt(0)
	v_and_b32_e32 v25, 0xffff, v2
	v_lshlrev_b64 v[2:3], s14, v[25:26]
	s_add_u32 s14, s14, 8
	s_addc_u32 s15, s15, 0
	v_or_b32_e32 v10, v2, v10
	s_cmp_lg_u32 s18, s16
	v_or_b32_e32 v11, v3, v11
	s_cbranch_scc1 .LBB6_1484
	s_branch .LBB6_1487
.LBB6_1485:                             ;   in Loop: Header=BB6_1474 Depth=1
                                        ; implicit-def: $vgpr10_vgpr11
                                        ; implicit-def: $sgpr19
	s_branch .LBB6_1488
.LBB6_1486:                             ;   in Loop: Header=BB6_1474 Depth=1
	v_mov_b32_e32 v10, 0
	v_mov_b32_e32 v11, 0
.LBB6_1487:                             ;   in Loop: Header=BB6_1474 Depth=1
	s_mov_b32 s19, 0
	s_cbranch_execnz .LBB6_1489
.LBB6_1488:                             ;   in Loop: Header=BB6_1474 Depth=1
	global_load_dwordx2 v[10:11], v26, s[4:5]
	s_add_i32 s19, s18, -8
	s_add_u32 s4, s4, 8
	s_addc_u32 s5, s5, 0
.LBB6_1489:                             ;   in Loop: Header=BB6_1474 Depth=1
	s_cmp_gt_u32 s19, 7
	s_cbranch_scc1 .LBB6_1493
; %bb.1490:                             ;   in Loop: Header=BB6_1474 Depth=1
	s_cmp_eq_u32 s19, 0
	s_cbranch_scc1 .LBB6_1494
; %bb.1491:                             ;   in Loop: Header=BB6_1474 Depth=1
	v_mov_b32_e32 v12, 0
	s_mov_b64 s[14:15], 0
	v_mov_b32_e32 v13, 0
	s_mov_b64 s[16:17], 0
.LBB6_1492:                             ;   Parent Loop BB6_1474 Depth=1
                                        ; =>  This Inner Loop Header: Depth=2
	s_add_u32 s20, s4, s16
	s_addc_u32 s21, s5, s17
	global_load_ubyte v2, v26, s[20:21]
	s_add_u32 s16, s16, 1
	s_addc_u32 s17, s17, 0
	s_waitcnt vmcnt(0)
	v_and_b32_e32 v25, 0xffff, v2
	v_lshlrev_b64 v[2:3], s14, v[25:26]
	s_add_u32 s14, s14, 8
	s_addc_u32 s15, s15, 0
	v_or_b32_e32 v12, v2, v12
	s_cmp_lg_u32 s19, s16
	v_or_b32_e32 v13, v3, v13
	s_cbranch_scc1 .LBB6_1492
	s_branch .LBB6_1495
.LBB6_1493:                             ;   in Loop: Header=BB6_1474 Depth=1
                                        ; implicit-def: $sgpr18
	s_branch .LBB6_1496
.LBB6_1494:                             ;   in Loop: Header=BB6_1474 Depth=1
	v_mov_b32_e32 v12, 0
	v_mov_b32_e32 v13, 0
.LBB6_1495:                             ;   in Loop: Header=BB6_1474 Depth=1
	s_mov_b32 s18, 0
	s_cbranch_execnz .LBB6_1497
.LBB6_1496:                             ;   in Loop: Header=BB6_1474 Depth=1
	global_load_dwordx2 v[12:13], v26, s[4:5]
	s_add_i32 s18, s19, -8
	s_add_u32 s4, s4, 8
	s_addc_u32 s5, s5, 0
.LBB6_1497:                             ;   in Loop: Header=BB6_1474 Depth=1
	s_cmp_gt_u32 s18, 7
	s_cbranch_scc1 .LBB6_1501
; %bb.1498:                             ;   in Loop: Header=BB6_1474 Depth=1
	s_cmp_eq_u32 s18, 0
	s_cbranch_scc1 .LBB6_1502
; %bb.1499:                             ;   in Loop: Header=BB6_1474 Depth=1
	v_mov_b32_e32 v14, 0
	s_mov_b64 s[14:15], 0
	v_mov_b32_e32 v15, 0
	s_mov_b64 s[16:17], 0
.LBB6_1500:                             ;   Parent Loop BB6_1474 Depth=1
                                        ; =>  This Inner Loop Header: Depth=2
	s_add_u32 s20, s4, s16
	s_addc_u32 s21, s5, s17
	global_load_ubyte v2, v26, s[20:21]
	s_add_u32 s16, s16, 1
	s_addc_u32 s17, s17, 0
	s_waitcnt vmcnt(0)
	v_and_b32_e32 v25, 0xffff, v2
	v_lshlrev_b64 v[2:3], s14, v[25:26]
	s_add_u32 s14, s14, 8
	s_addc_u32 s15, s15, 0
	v_or_b32_e32 v14, v2, v14
	s_cmp_lg_u32 s18, s16
	v_or_b32_e32 v15, v3, v15
	s_cbranch_scc1 .LBB6_1500
	s_branch .LBB6_1503
.LBB6_1501:                             ;   in Loop: Header=BB6_1474 Depth=1
                                        ; implicit-def: $vgpr14_vgpr15
                                        ; implicit-def: $sgpr19
	s_branch .LBB6_1504
.LBB6_1502:                             ;   in Loop: Header=BB6_1474 Depth=1
	v_mov_b32_e32 v14, 0
	v_mov_b32_e32 v15, 0
.LBB6_1503:                             ;   in Loop: Header=BB6_1474 Depth=1
	s_mov_b32 s19, 0
	s_cbranch_execnz .LBB6_1505
.LBB6_1504:                             ;   in Loop: Header=BB6_1474 Depth=1
	global_load_dwordx2 v[14:15], v26, s[4:5]
	s_add_i32 s19, s18, -8
	s_add_u32 s4, s4, 8
	s_addc_u32 s5, s5, 0
.LBB6_1505:                             ;   in Loop: Header=BB6_1474 Depth=1
	s_cmp_gt_u32 s19, 7
	s_cbranch_scc1 .LBB6_1509
; %bb.1506:                             ;   in Loop: Header=BB6_1474 Depth=1
	s_cmp_eq_u32 s19, 0
	s_cbranch_scc1 .LBB6_1510
; %bb.1507:                             ;   in Loop: Header=BB6_1474 Depth=1
	v_mov_b32_e32 v16, 0
	s_mov_b64 s[14:15], 0
	v_mov_b32_e32 v17, 0
	s_mov_b64 s[16:17], 0
.LBB6_1508:                             ;   Parent Loop BB6_1474 Depth=1
                                        ; =>  This Inner Loop Header: Depth=2
	s_add_u32 s20, s4, s16
	s_addc_u32 s21, s5, s17
	global_load_ubyte v2, v26, s[20:21]
	s_add_u32 s16, s16, 1
	s_addc_u32 s17, s17, 0
	s_waitcnt vmcnt(0)
	v_and_b32_e32 v25, 0xffff, v2
	v_lshlrev_b64 v[2:3], s14, v[25:26]
	s_add_u32 s14, s14, 8
	s_addc_u32 s15, s15, 0
	v_or_b32_e32 v16, v2, v16
	s_cmp_lg_u32 s19, s16
	v_or_b32_e32 v17, v3, v17
	s_cbranch_scc1 .LBB6_1508
	s_branch .LBB6_1511
.LBB6_1509:                             ;   in Loop: Header=BB6_1474 Depth=1
                                        ; implicit-def: $sgpr18
	s_branch .LBB6_1512
.LBB6_1510:                             ;   in Loop: Header=BB6_1474 Depth=1
	v_mov_b32_e32 v16, 0
	v_mov_b32_e32 v17, 0
.LBB6_1511:                             ;   in Loop: Header=BB6_1474 Depth=1
	s_mov_b32 s18, 0
	s_cbranch_execnz .LBB6_1513
.LBB6_1512:                             ;   in Loop: Header=BB6_1474 Depth=1
	global_load_dwordx2 v[16:17], v26, s[4:5]
	s_add_i32 s18, s19, -8
	s_add_u32 s4, s4, 8
	s_addc_u32 s5, s5, 0
.LBB6_1513:                             ;   in Loop: Header=BB6_1474 Depth=1
	s_cmp_gt_u32 s18, 7
	s_cbranch_scc1 .LBB6_1517
; %bb.1514:                             ;   in Loop: Header=BB6_1474 Depth=1
	s_cmp_eq_u32 s18, 0
	s_cbranch_scc1 .LBB6_1518
; %bb.1515:                             ;   in Loop: Header=BB6_1474 Depth=1
	v_mov_b32_e32 v18, 0
	s_mov_b64 s[14:15], 0
	v_mov_b32_e32 v19, 0
	s_mov_b64 s[16:17], 0
.LBB6_1516:                             ;   Parent Loop BB6_1474 Depth=1
                                        ; =>  This Inner Loop Header: Depth=2
	s_add_u32 s20, s4, s16
	s_addc_u32 s21, s5, s17
	global_load_ubyte v2, v26, s[20:21]
	s_add_u32 s16, s16, 1
	s_addc_u32 s17, s17, 0
	s_waitcnt vmcnt(0)
	v_and_b32_e32 v25, 0xffff, v2
	v_lshlrev_b64 v[2:3], s14, v[25:26]
	s_add_u32 s14, s14, 8
	s_addc_u32 s15, s15, 0
	v_or_b32_e32 v18, v2, v18
	s_cmp_lg_u32 s18, s16
	v_or_b32_e32 v19, v3, v19
	s_cbranch_scc1 .LBB6_1516
	s_branch .LBB6_1519
.LBB6_1517:                             ;   in Loop: Header=BB6_1474 Depth=1
                                        ; implicit-def: $vgpr18_vgpr19
                                        ; implicit-def: $sgpr19
	s_branch .LBB6_1520
.LBB6_1518:                             ;   in Loop: Header=BB6_1474 Depth=1
	v_mov_b32_e32 v18, 0
	v_mov_b32_e32 v19, 0
.LBB6_1519:                             ;   in Loop: Header=BB6_1474 Depth=1
	s_mov_b32 s19, 0
	s_cbranch_execnz .LBB6_1521
.LBB6_1520:                             ;   in Loop: Header=BB6_1474 Depth=1
	global_load_dwordx2 v[18:19], v26, s[4:5]
	s_add_i32 s19, s18, -8
	s_add_u32 s4, s4, 8
	s_addc_u32 s5, s5, 0
.LBB6_1521:                             ;   in Loop: Header=BB6_1474 Depth=1
	s_cmp_gt_u32 s19, 7
	s_cbranch_scc1 .LBB6_1525
; %bb.1522:                             ;   in Loop: Header=BB6_1474 Depth=1
	s_cmp_eq_u32 s19, 0
	s_cbranch_scc1 .LBB6_1526
; %bb.1523:                             ;   in Loop: Header=BB6_1474 Depth=1
	v_mov_b32_e32 v20, 0
	s_mov_b64 s[14:15], 0
	v_mov_b32_e32 v21, 0
	s_mov_b64 s[16:17], s[4:5]
.LBB6_1524:                             ;   Parent Loop BB6_1474 Depth=1
                                        ; =>  This Inner Loop Header: Depth=2
	global_load_ubyte v2, v26, s[16:17]
	s_add_i32 s19, s19, -1
	s_waitcnt vmcnt(0)
	v_and_b32_e32 v25, 0xffff, v2
	v_lshlrev_b64 v[2:3], s14, v[25:26]
	s_add_u32 s14, s14, 8
	s_addc_u32 s15, s15, 0
	s_add_u32 s16, s16, 1
	s_addc_u32 s17, s17, 0
	v_or_b32_e32 v20, v2, v20
	s_cmp_lg_u32 s19, 0
	v_or_b32_e32 v21, v3, v21
	s_cbranch_scc1 .LBB6_1524
	s_branch .LBB6_1527
.LBB6_1525:                             ;   in Loop: Header=BB6_1474 Depth=1
	s_branch .LBB6_1528
.LBB6_1526:                             ;   in Loop: Header=BB6_1474 Depth=1
	v_mov_b32_e32 v20, 0
	v_mov_b32_e32 v21, 0
.LBB6_1527:                             ;   in Loop: Header=BB6_1474 Depth=1
	s_cbranch_execnz .LBB6_1529
.LBB6_1528:                             ;   in Loop: Header=BB6_1474 Depth=1
	global_load_dwordx2 v[20:21], v26, s[4:5]
.LBB6_1529:                             ;   in Loop: Header=BB6_1474 Depth=1
	v_readfirstlane_b32 s4, v32
	v_mov_b32_e32 v2, 0
	v_mov_b32_e32 v3, 0
	v_cmp_eq_u32_e64 s[4:5], s4, v32
	s_and_saveexec_b64 s[14:15], s[4:5]
	s_cbranch_execz .LBB6_1535
; %bb.1530:                             ;   in Loop: Header=BB6_1474 Depth=1
	global_load_dwordx2 v[24:25], v26, s[6:7] offset:24 glc
	s_waitcnt vmcnt(0)
	buffer_wbinvl1_vol
	global_load_dwordx2 v[2:3], v26, s[6:7] offset:40
	global_load_dwordx2 v[22:23], v26, s[6:7]
	s_waitcnt vmcnt(1)
	v_and_b32_e32 v2, v2, v24
	v_and_b32_e32 v3, v3, v25
	v_mul_lo_u32 v3, v3, 24
	v_mul_hi_u32 v27, v2, 24
	v_mul_lo_u32 v2, v2, 24
	v_add_u32_e32 v3, v27, v3
	s_waitcnt vmcnt(0)
	v_add_co_u32_e32 v2, vcc, v22, v2
	v_addc_co_u32_e32 v3, vcc, v23, v3, vcc
	global_load_dwordx2 v[22:23], v[2:3], off glc
	s_waitcnt vmcnt(0)
	global_atomic_cmpswap_x2 v[2:3], v26, v[22:25], s[6:7] offset:24 glc
	s_waitcnt vmcnt(0)
	buffer_wbinvl1_vol
	v_cmp_ne_u64_e32 vcc, v[2:3], v[24:25]
	s_and_saveexec_b64 s[16:17], vcc
	s_cbranch_execz .LBB6_1534
; %bb.1531:                             ;   in Loop: Header=BB6_1474 Depth=1
	s_mov_b64 s[18:19], 0
.LBB6_1532:                             ;   Parent Loop BB6_1474 Depth=1
                                        ; =>  This Inner Loop Header: Depth=2
	s_sleep 1
	global_load_dwordx2 v[22:23], v26, s[6:7] offset:40
	global_load_dwordx2 v[27:28], v26, s[6:7]
	v_mov_b32_e32 v25, v3
	v_mov_b32_e32 v24, v2
	s_waitcnt vmcnt(1)
	v_and_b32_e32 v2, v22, v24
	s_waitcnt vmcnt(0)
	v_mad_u64_u32 v[2:3], s[20:21], v2, 24, v[27:28]
	v_and_b32_e32 v22, v23, v25
	v_mad_u64_u32 v[22:23], s[20:21], v22, 24, v[3:4]
	v_mov_b32_e32 v3, v22
	global_load_dwordx2 v[22:23], v[2:3], off glc
	s_waitcnt vmcnt(0)
	global_atomic_cmpswap_x2 v[2:3], v26, v[22:25], s[6:7] offset:24 glc
	s_waitcnt vmcnt(0)
	buffer_wbinvl1_vol
	v_cmp_eq_u64_e32 vcc, v[2:3], v[24:25]
	s_or_b64 s[18:19], vcc, s[18:19]
	s_andn2_b64 exec, exec, s[18:19]
	s_cbranch_execnz .LBB6_1532
; %bb.1533:                             ;   in Loop: Header=BB6_1474 Depth=1
	s_or_b64 exec, exec, s[18:19]
.LBB6_1534:                             ;   in Loop: Header=BB6_1474 Depth=1
	s_or_b64 exec, exec, s[16:17]
.LBB6_1535:                             ;   in Loop: Header=BB6_1474 Depth=1
	s_or_b64 exec, exec, s[14:15]
	global_load_dwordx2 v[27:28], v26, s[6:7] offset:40
	global_load_dwordx4 v[22:25], v26, s[6:7]
	v_readfirstlane_b32 s14, v2
	v_readfirstlane_b32 s15, v3
	s_mov_b64 s[16:17], exec
	s_waitcnt vmcnt(1)
	v_readfirstlane_b32 s18, v27
	v_readfirstlane_b32 s19, v28
	s_and_b64 s[18:19], s[14:15], s[18:19]
	s_mul_i32 s20, s19, 24
	s_mul_hi_u32 s21, s18, 24
	s_mul_i32 s22, s18, 24
	s_add_i32 s20, s21, s20
	v_mov_b32_e32 v2, s20
	s_waitcnt vmcnt(0)
	v_add_co_u32_e32 v27, vcc, s22, v22
	v_addc_co_u32_e32 v28, vcc, v23, v2, vcc
	s_and_saveexec_b64 s[20:21], s[4:5]
	s_cbranch_execz .LBB6_1537
; %bb.1536:                             ;   in Loop: Header=BB6_1474 Depth=1
	v_mov_b32_e32 v2, s16
	v_mov_b32_e32 v3, s17
	global_store_dwordx4 v[27:28], v[2:5], off offset:8
.LBB6_1537:                             ;   in Loop: Header=BB6_1474 Depth=1
	s_or_b64 exec, exec, s[20:21]
	s_lshl_b64 s[16:17], s[18:19], 12
	v_mov_b32_e32 v2, s17
	v_add_co_u32_e32 v24, vcc, s16, v24
	v_addc_co_u32_e32 v29, vcc, v25, v2, vcc
	v_cmp_gt_u64_e64 vcc, s[10:11], 56
	v_or_b32_e32 v2, 2, v6
	s_lshl_b32 s16, s12, 2
	v_cndmask_b32_e32 v2, v2, v6, vcc
	s_add_i32 s16, s16, 28
	s_and_b32 s16, s16, 0x1e0
	v_and_b32_e32 v2, 0xffffff1f, v2
	v_or_b32_e32 v6, s16, v2
	v_readfirstlane_b32 s16, v24
	v_readfirstlane_b32 s17, v29
	s_nop 4
	global_store_dwordx4 v31, v[6:9], s[16:17]
	global_store_dwordx4 v31, v[10:13], s[16:17] offset:16
	global_store_dwordx4 v31, v[14:17], s[16:17] offset:32
	;; [unrolled: 1-line block ×3, first 2 shown]
	s_and_saveexec_b64 s[16:17], s[4:5]
	s_cbranch_execz .LBB6_1545
; %bb.1538:                             ;   in Loop: Header=BB6_1474 Depth=1
	global_load_dwordx2 v[10:11], v26, s[6:7] offset:32 glc
	global_load_dwordx2 v[2:3], v26, s[6:7] offset:40
	v_mov_b32_e32 v8, s14
	v_mov_b32_e32 v9, s15
	s_waitcnt vmcnt(0)
	v_readfirstlane_b32 s18, v2
	v_readfirstlane_b32 s19, v3
	s_and_b64 s[18:19], s[18:19], s[14:15]
	s_mul_i32 s19, s19, 24
	s_mul_hi_u32 s20, s18, 24
	s_mul_i32 s18, s18, 24
	s_add_i32 s19, s20, s19
	v_mov_b32_e32 v3, s19
	v_add_co_u32_e32 v2, vcc, s18, v22
	v_addc_co_u32_e32 v3, vcc, v23, v3, vcc
	global_store_dwordx2 v[2:3], v[10:11], off
	s_waitcnt vmcnt(0)
	global_atomic_cmpswap_x2 v[8:9], v26, v[8:11], s[6:7] offset:32 glc
	s_waitcnt vmcnt(0)
	v_cmp_ne_u64_e32 vcc, v[8:9], v[10:11]
	s_and_saveexec_b64 s[18:19], vcc
	s_cbranch_execz .LBB6_1541
; %bb.1539:                             ;   in Loop: Header=BB6_1474 Depth=1
	s_mov_b64 s[20:21], 0
.LBB6_1540:                             ;   Parent Loop BB6_1474 Depth=1
                                        ; =>  This Inner Loop Header: Depth=2
	s_sleep 1
	global_store_dwordx2 v[2:3], v[8:9], off
	v_mov_b32_e32 v6, s14
	v_mov_b32_e32 v7, s15
	s_waitcnt vmcnt(0)
	global_atomic_cmpswap_x2 v[6:7], v26, v[6:9], s[6:7] offset:32 glc
	s_waitcnt vmcnt(0)
	v_cmp_eq_u64_e32 vcc, v[6:7], v[8:9]
	v_mov_b32_e32 v9, v7
	s_or_b64 s[20:21], vcc, s[20:21]
	v_mov_b32_e32 v8, v6
	s_andn2_b64 exec, exec, s[20:21]
	s_cbranch_execnz .LBB6_1540
.LBB6_1541:                             ;   in Loop: Header=BB6_1474 Depth=1
	s_or_b64 exec, exec, s[18:19]
	global_load_dwordx2 v[2:3], v26, s[6:7] offset:16
	s_mov_b64 s[20:21], exec
	v_mbcnt_lo_u32_b32 v6, s20, 0
	v_mbcnt_hi_u32_b32 v6, s21, v6
	v_cmp_eq_u32_e32 vcc, 0, v6
	s_and_saveexec_b64 s[18:19], vcc
	s_cbranch_execz .LBB6_1543
; %bb.1542:                             ;   in Loop: Header=BB6_1474 Depth=1
	s_bcnt1_i32_b64 s20, s[20:21]
	v_mov_b32_e32 v25, s20
	s_waitcnt vmcnt(0)
	global_atomic_add_x2 v[2:3], v[25:26], off offset:8
.LBB6_1543:                             ;   in Loop: Header=BB6_1474 Depth=1
	s_or_b64 exec, exec, s[18:19]
	s_waitcnt vmcnt(0)
	global_load_dwordx2 v[6:7], v[2:3], off offset:16
	s_waitcnt vmcnt(0)
	v_cmp_eq_u64_e32 vcc, 0, v[6:7]
	s_cbranch_vccnz .LBB6_1545
; %bb.1544:                             ;   in Loop: Header=BB6_1474 Depth=1
	global_load_dword v25, v[2:3], off offset:24
	s_waitcnt vmcnt(0)
	v_and_b32_e32 v2, 0xffffff, v25
	v_readfirstlane_b32 m0, v2
	global_store_dwordx2 v[6:7], v[25:26], off
	s_sendmsg sendmsg(MSG_INTERRUPT)
.LBB6_1545:                             ;   in Loop: Header=BB6_1474 Depth=1
	s_or_b64 exec, exec, s[16:17]
	v_add_co_u32_e32 v2, vcc, v24, v31
	v_addc_co_u32_e32 v3, vcc, 0, v29, vcc
	s_branch .LBB6_1549
.LBB6_1546:                             ;   in Loop: Header=BB6_1549 Depth=2
	s_or_b64 exec, exec, s[16:17]
	v_readfirstlane_b32 s16, v6
	s_cmp_eq_u32 s16, 0
	s_cbranch_scc1 .LBB6_1548
; %bb.1547:                             ;   in Loop: Header=BB6_1549 Depth=2
	s_sleep 1
	s_cbranch_execnz .LBB6_1549
	s_branch .LBB6_1551
.LBB6_1548:                             ;   in Loop: Header=BB6_1474 Depth=1
	s_branch .LBB6_1551
.LBB6_1549:                             ;   Parent Loop BB6_1474 Depth=1
                                        ; =>  This Inner Loop Header: Depth=2
	v_mov_b32_e32 v6, 1
	s_and_saveexec_b64 s[16:17], s[4:5]
	s_cbranch_execz .LBB6_1546
; %bb.1550:                             ;   in Loop: Header=BB6_1549 Depth=2
	global_load_dword v6, v[27:28], off offset:20 glc
	s_waitcnt vmcnt(0)
	buffer_wbinvl1_vol
	v_and_b32_e32 v6, 1, v6
	s_branch .LBB6_1546
.LBB6_1551:                             ;   in Loop: Header=BB6_1474 Depth=1
	global_load_dwordx4 v[6:9], v[2:3], off
	s_and_saveexec_b64 s[16:17], s[4:5]
	s_cbranch_execz .LBB6_1473
; %bb.1552:                             ;   in Loop: Header=BB6_1474 Depth=1
	global_load_dwordx2 v[2:3], v26, s[6:7] offset:40
	global_load_dwordx2 v[12:13], v26, s[6:7] offset:24 glc
	global_load_dwordx2 v[14:15], v26, s[6:7]
	s_waitcnt vmcnt(3)
	v_mov_b32_e32 v9, s15
	s_waitcnt vmcnt(2)
	v_add_co_u32_e32 v10, vcc, 1, v2
	v_addc_co_u32_e32 v11, vcc, 0, v3, vcc
	v_add_co_u32_e32 v8, vcc, s14, v10
	v_addc_co_u32_e32 v9, vcc, v11, v9, vcc
	v_cmp_eq_u64_e32 vcc, 0, v[8:9]
	v_cndmask_b32_e32 v9, v9, v11, vcc
	v_cndmask_b32_e32 v8, v8, v10, vcc
	v_and_b32_e32 v3, v9, v3
	v_and_b32_e32 v2, v8, v2
	v_mul_lo_u32 v3, v3, 24
	v_mul_hi_u32 v11, v2, 24
	v_mul_lo_u32 v2, v2, 24
	s_waitcnt vmcnt(1)
	v_mov_b32_e32 v10, v12
	v_add_u32_e32 v3, v11, v3
	s_waitcnt vmcnt(0)
	v_add_co_u32_e32 v2, vcc, v14, v2
	v_addc_co_u32_e32 v3, vcc, v15, v3, vcc
	global_store_dwordx2 v[2:3], v[12:13], off
	v_mov_b32_e32 v11, v13
	s_waitcnt vmcnt(0)
	global_atomic_cmpswap_x2 v[10:11], v26, v[8:11], s[6:7] offset:24 glc
	s_waitcnt vmcnt(0)
	v_cmp_ne_u64_e32 vcc, v[10:11], v[12:13]
	s_and_b64 exec, exec, vcc
	s_cbranch_execz .LBB6_1473
; %bb.1553:                             ;   in Loop: Header=BB6_1474 Depth=1
	s_mov_b64 s[4:5], 0
.LBB6_1554:                             ;   Parent Loop BB6_1474 Depth=1
                                        ; =>  This Inner Loop Header: Depth=2
	s_sleep 1
	global_store_dwordx2 v[2:3], v[10:11], off
	s_waitcnt vmcnt(0)
	global_atomic_cmpswap_x2 v[12:13], v26, v[8:11], s[6:7] offset:24 glc
	s_waitcnt vmcnt(0)
	v_cmp_eq_u64_e32 vcc, v[12:13], v[10:11]
	v_mov_b32_e32 v10, v12
	s_or_b64 s[4:5], vcc, s[4:5]
	v_mov_b32_e32 v11, v13
	s_andn2_b64 exec, exec, s[4:5]
	s_cbranch_execnz .LBB6_1554
	s_branch .LBB6_1473
.LBB6_1555:
	s_branch .LBB6_1583
.LBB6_1556:
	s_cbranch_execz .LBB6_1583
; %bb.1557:
	v_readfirstlane_b32 s4, v32
	s_waitcnt vmcnt(0)
	v_mov_b32_e32 v8, 0
	v_mov_b32_e32 v9, 0
	v_cmp_eq_u32_e64 s[4:5], s4, v32
	s_and_saveexec_b64 s[8:9], s[4:5]
	s_cbranch_execz .LBB6_1563
; %bb.1558:
	v_mov_b32_e32 v2, 0
	global_load_dwordx2 v[5:6], v2, s[6:7] offset:24 glc
	s_waitcnt vmcnt(0)
	buffer_wbinvl1_vol
	global_load_dwordx2 v[3:4], v2, s[6:7] offset:40
	global_load_dwordx2 v[7:8], v2, s[6:7]
	s_waitcnt vmcnt(1)
	v_and_b32_e32 v3, v3, v5
	v_and_b32_e32 v4, v4, v6
	v_mul_lo_u32 v4, v4, 24
	v_mul_hi_u32 v9, v3, 24
	v_mul_lo_u32 v3, v3, 24
	v_add_u32_e32 v4, v9, v4
	s_waitcnt vmcnt(0)
	v_add_co_u32_e32 v3, vcc, v7, v3
	v_addc_co_u32_e32 v4, vcc, v8, v4, vcc
	global_load_dwordx2 v[3:4], v[3:4], off glc
	s_waitcnt vmcnt(0)
	global_atomic_cmpswap_x2 v[8:9], v2, v[3:6], s[6:7] offset:24 glc
	s_waitcnt vmcnt(0)
	buffer_wbinvl1_vol
	v_cmp_ne_u64_e32 vcc, v[8:9], v[5:6]
	s_and_saveexec_b64 s[10:11], vcc
	s_cbranch_execz .LBB6_1562
; %bb.1559:
	s_mov_b64 s[12:13], 0
.LBB6_1560:                             ; =>This Inner Loop Header: Depth=1
	s_sleep 1
	global_load_dwordx2 v[3:4], v2, s[6:7] offset:40
	global_load_dwordx2 v[10:11], v2, s[6:7]
	v_mov_b32_e32 v5, v8
	v_mov_b32_e32 v6, v9
	s_waitcnt vmcnt(1)
	v_and_b32_e32 v3, v3, v5
	s_waitcnt vmcnt(0)
	v_mad_u64_u32 v[7:8], s[14:15], v3, 24, v[10:11]
	v_and_b32_e32 v4, v4, v6
	v_mov_b32_e32 v3, v8
	v_mad_u64_u32 v[3:4], s[14:15], v4, 24, v[3:4]
	v_mov_b32_e32 v8, v3
	global_load_dwordx2 v[3:4], v[7:8], off glc
	s_waitcnt vmcnt(0)
	global_atomic_cmpswap_x2 v[8:9], v2, v[3:6], s[6:7] offset:24 glc
	s_waitcnt vmcnt(0)
	buffer_wbinvl1_vol
	v_cmp_eq_u64_e32 vcc, v[8:9], v[5:6]
	s_or_b64 s[12:13], vcc, s[12:13]
	s_andn2_b64 exec, exec, s[12:13]
	s_cbranch_execnz .LBB6_1560
; %bb.1561:
	s_or_b64 exec, exec, s[12:13]
.LBB6_1562:
	s_or_b64 exec, exec, s[10:11]
.LBB6_1563:
	s_or_b64 exec, exec, s[8:9]
	v_mov_b32_e32 v2, 0
	global_load_dwordx2 v[10:11], v2, s[6:7] offset:40
	global_load_dwordx4 v[4:7], v2, s[6:7]
	v_readfirstlane_b32 s8, v8
	v_readfirstlane_b32 s9, v9
	s_mov_b64 s[10:11], exec
	s_waitcnt vmcnt(1)
	v_readfirstlane_b32 s12, v10
	v_readfirstlane_b32 s13, v11
	s_and_b64 s[12:13], s[8:9], s[12:13]
	s_mul_i32 s14, s13, 24
	s_mul_hi_u32 s15, s12, 24
	s_mul_i32 s16, s12, 24
	s_add_i32 s14, s15, s14
	v_mov_b32_e32 v3, s14
	s_waitcnt vmcnt(0)
	v_add_co_u32_e32 v8, vcc, s16, v4
	v_addc_co_u32_e32 v9, vcc, v5, v3, vcc
	s_and_saveexec_b64 s[14:15], s[4:5]
	s_cbranch_execz .LBB6_1565
; %bb.1564:
	v_mov_b32_e32 v10, s10
	v_mov_b32_e32 v11, s11
	;; [unrolled: 1-line block ×4, first 2 shown]
	global_store_dwordx4 v[8:9], v[10:13], off offset:8
.LBB6_1565:
	s_or_b64 exec, exec, s[14:15]
	s_lshl_b64 s[10:11], s[12:13], 12
	v_mov_b32_e32 v3, s11
	v_add_co_u32_e32 v6, vcc, s10, v6
	v_addc_co_u32_e32 v7, vcc, v7, v3, vcc
	s_movk_i32 s10, 0xff1d
	v_and_or_b32 v0, v0, s10, 34
	s_mov_b32 s12, 0
	v_mov_b32_e32 v3, v2
	v_readfirstlane_b32 s10, v6
	v_readfirstlane_b32 s11, v7
	s_mov_b32 s13, s12
	s_mov_b32 s14, s12
	;; [unrolled: 1-line block ×3, first 2 shown]
	s_nop 1
	global_store_dwordx4 v31, v[0:3], s[10:11]
	s_nop 0
	v_mov_b32_e32 v0, s12
	v_mov_b32_e32 v1, s13
	;; [unrolled: 1-line block ×4, first 2 shown]
	global_store_dwordx4 v31, v[0:3], s[10:11] offset:16
	global_store_dwordx4 v31, v[0:3], s[10:11] offset:32
	;; [unrolled: 1-line block ×3, first 2 shown]
	s_and_saveexec_b64 s[10:11], s[4:5]
	s_cbranch_execz .LBB6_1573
; %bb.1566:
	v_mov_b32_e32 v6, 0
	global_load_dwordx2 v[12:13], v6, s[6:7] offset:32 glc
	global_load_dwordx2 v[0:1], v6, s[6:7] offset:40
	v_mov_b32_e32 v10, s8
	v_mov_b32_e32 v11, s9
	s_waitcnt vmcnt(0)
	v_readfirstlane_b32 s12, v0
	v_readfirstlane_b32 s13, v1
	s_and_b64 s[12:13], s[12:13], s[8:9]
	s_mul_i32 s13, s13, 24
	s_mul_hi_u32 s14, s12, 24
	s_mul_i32 s12, s12, 24
	s_add_i32 s13, s14, s13
	v_mov_b32_e32 v0, s13
	v_add_co_u32_e32 v4, vcc, s12, v4
	v_addc_co_u32_e32 v5, vcc, v5, v0, vcc
	global_store_dwordx2 v[4:5], v[12:13], off
	s_waitcnt vmcnt(0)
	global_atomic_cmpswap_x2 v[2:3], v6, v[10:13], s[6:7] offset:32 glc
	s_waitcnt vmcnt(0)
	v_cmp_ne_u64_e32 vcc, v[2:3], v[12:13]
	s_and_saveexec_b64 s[12:13], vcc
	s_cbranch_execz .LBB6_1569
; %bb.1567:
	s_mov_b64 s[14:15], 0
.LBB6_1568:                             ; =>This Inner Loop Header: Depth=1
	s_sleep 1
	global_store_dwordx2 v[4:5], v[2:3], off
	v_mov_b32_e32 v0, s8
	v_mov_b32_e32 v1, s9
	s_waitcnt vmcnt(0)
	global_atomic_cmpswap_x2 v[0:1], v6, v[0:3], s[6:7] offset:32 glc
	s_waitcnt vmcnt(0)
	v_cmp_eq_u64_e32 vcc, v[0:1], v[2:3]
	v_mov_b32_e32 v3, v1
	s_or_b64 s[14:15], vcc, s[14:15]
	v_mov_b32_e32 v2, v0
	s_andn2_b64 exec, exec, s[14:15]
	s_cbranch_execnz .LBB6_1568
.LBB6_1569:
	s_or_b64 exec, exec, s[12:13]
	v_mov_b32_e32 v3, 0
	global_load_dwordx2 v[0:1], v3, s[6:7] offset:16
	s_mov_b64 s[12:13], exec
	v_mbcnt_lo_u32_b32 v2, s12, 0
	v_mbcnt_hi_u32_b32 v2, s13, v2
	v_cmp_eq_u32_e32 vcc, 0, v2
	s_and_saveexec_b64 s[14:15], vcc
	s_cbranch_execz .LBB6_1571
; %bb.1570:
	s_bcnt1_i32_b64 s12, s[12:13]
	v_mov_b32_e32 v2, s12
	s_waitcnt vmcnt(0)
	global_atomic_add_x2 v[0:1], v[2:3], off offset:8
.LBB6_1571:
	s_or_b64 exec, exec, s[14:15]
	s_waitcnt vmcnt(0)
	global_load_dwordx2 v[2:3], v[0:1], off offset:16
	s_waitcnt vmcnt(0)
	v_cmp_eq_u64_e32 vcc, 0, v[2:3]
	s_cbranch_vccnz .LBB6_1573
; %bb.1572:
	global_load_dword v0, v[0:1], off offset:24
	v_mov_b32_e32 v1, 0
	s_waitcnt vmcnt(0)
	global_store_dwordx2 v[2:3], v[0:1], off
	v_and_b32_e32 v0, 0xffffff, v0
	v_readfirstlane_b32 m0, v0
	s_sendmsg sendmsg(MSG_INTERRUPT)
.LBB6_1573:
	s_or_b64 exec, exec, s[10:11]
	s_branch .LBB6_1577
.LBB6_1574:                             ;   in Loop: Header=BB6_1577 Depth=1
	s_or_b64 exec, exec, s[10:11]
	v_readfirstlane_b32 s10, v0
	s_cmp_eq_u32 s10, 0
	s_cbranch_scc1 .LBB6_1576
; %bb.1575:                             ;   in Loop: Header=BB6_1577 Depth=1
	s_sleep 1
	s_cbranch_execnz .LBB6_1577
	s_branch .LBB6_1579
.LBB6_1576:
	s_branch .LBB6_1579
.LBB6_1577:                             ; =>This Inner Loop Header: Depth=1
	v_mov_b32_e32 v0, 1
	s_and_saveexec_b64 s[10:11], s[4:5]
	s_cbranch_execz .LBB6_1574
; %bb.1578:                             ;   in Loop: Header=BB6_1577 Depth=1
	global_load_dword v0, v[8:9], off offset:20 glc
	s_waitcnt vmcnt(0)
	buffer_wbinvl1_vol
	v_and_b32_e32 v0, 1, v0
	s_branch .LBB6_1574
.LBB6_1579:
	s_and_saveexec_b64 s[10:11], s[4:5]
	s_cbranch_execz .LBB6_1582
; %bb.1580:
	v_mov_b32_e32 v6, 0
	global_load_dwordx2 v[2:3], v6, s[6:7] offset:40
	global_load_dwordx2 v[7:8], v6, s[6:7] offset:24 glc
	global_load_dwordx2 v[4:5], v6, s[6:7]
	v_mov_b32_e32 v1, s9
	s_mov_b64 s[4:5], 0
	s_waitcnt vmcnt(2)
	v_add_co_u32_e32 v9, vcc, 1, v2
	v_addc_co_u32_e32 v10, vcc, 0, v3, vcc
	v_add_co_u32_e32 v0, vcc, s8, v9
	v_addc_co_u32_e32 v1, vcc, v10, v1, vcc
	v_cmp_eq_u64_e32 vcc, 0, v[0:1]
	v_cndmask_b32_e32 v1, v1, v10, vcc
	v_cndmask_b32_e32 v0, v0, v9, vcc
	v_and_b32_e32 v3, v1, v3
	v_and_b32_e32 v2, v0, v2
	v_mul_lo_u32 v3, v3, 24
	v_mul_hi_u32 v9, v2, 24
	v_mul_lo_u32 v10, v2, 24
	s_waitcnt vmcnt(1)
	v_mov_b32_e32 v2, v7
	v_add_u32_e32 v3, v9, v3
	s_waitcnt vmcnt(0)
	v_add_co_u32_e32 v4, vcc, v4, v10
	v_addc_co_u32_e32 v5, vcc, v5, v3, vcc
	global_store_dwordx2 v[4:5], v[7:8], off
	v_mov_b32_e32 v3, v8
	s_waitcnt vmcnt(0)
	global_atomic_cmpswap_x2 v[2:3], v6, v[0:3], s[6:7] offset:24 glc
	s_waitcnt vmcnt(0)
	v_cmp_ne_u64_e32 vcc, v[2:3], v[7:8]
	s_and_b64 exec, exec, vcc
	s_cbranch_execz .LBB6_1582
.LBB6_1581:                             ; =>This Inner Loop Header: Depth=1
	s_sleep 1
	global_store_dwordx2 v[4:5], v[2:3], off
	s_waitcnt vmcnt(0)
	global_atomic_cmpswap_x2 v[7:8], v6, v[0:3], s[6:7] offset:24 glc
	s_waitcnt vmcnt(0)
	v_cmp_eq_u64_e32 vcc, v[7:8], v[2:3]
	v_mov_b32_e32 v2, v7
	s_or_b64 s[4:5], vcc, s[4:5]
	v_mov_b32_e32 v3, v8
	s_andn2_b64 exec, exec, s[4:5]
	s_cbranch_execnz .LBB6_1581
.LBB6_1582:
	s_or_b64 exec, exec, s[10:11]
.LBB6_1583:
	s_add_u32 s42, s52, 16
	s_addc_u32 s43, s53, 0
	s_getpc_b64 s[4:5]
	s_add_u32 s4, s4, .str.16@rel32@lo+4
	s_addc_u32 s5, s5, .str.16@rel32@hi+12
	s_mov_b64 s[8:9], s[42:43]
	s_waitcnt vmcnt(0)
	v_mov_b32_e32 v0, s4
	v_mov_b32_e32 v1, s5
	s_mov_b64 s[24:25], src_private_base
	s_getpc_b64 s[48:49]
	s_add_u32 s48, s48, _ZNK8migraphx13basic_printerIZNS_4coutEvEUlT_E_ElsEPKc@rel32@lo+4
	s_addc_u32 s49, s49, _ZNK8migraphx13basic_printerIZNS_4coutEvEUlT_E_ElsEPKc@rel32@hi+12
	s_swappc_b64 s[30:31], s[48:49]
	s_getpc_b64 s[4:5]
	s_add_u32 s4, s4, .str.3@rel32@lo+4
	s_addc_u32 s5, s5, .str.3@rel32@hi+12
	s_mov_b64 s[8:9], s[42:43]
	v_mov_b32_e32 v0, s4
	v_mov_b32_e32 v1, s5
	s_swappc_b64 s[30:31], s[48:49]
	s_mov_b64 s[8:9], s[42:43]
	v_mov_b32_e32 v0, 64
	v_mov_b32_e32 v1, s25
	s_getpc_b64 s[4:5]
	s_add_u32 s4, s4, _ZN8migraphx4testlsIKNS_13basic_printerIZNS_4coutEvEUlT_E_EEEERS3_S7_RKNS0_10expressionINS0_14lhs_expressionIRNS_5arrayIiLj6EEENS0_3nopEEESC_NS0_5equalEEE@rel32@lo+4
	s_addc_u32 s5, s5, _ZN8migraphx4testlsIKNS_13basic_printerIZNS_4coutEvEUlT_E_EEEERS3_S7_RKNS0_10expressionINS0_14lhs_expressionIRNS_5arrayIiLj6EEENS0_3nopEEESC_NS0_5equalEEE@rel32@hi+12
	s_swappc_b64 s[30:31], s[4:5]
	s_getpc_b64 s[4:5]
	s_add_u32 s4, s4, .str.4@rel32@lo+4
	s_addc_u32 s5, s5, .str.4@rel32@hi+12
	s_mov_b64 s[8:9], s[42:43]
	v_mov_b32_e32 v0, s4
	v_mov_b32_e32 v1, s5
	s_swappc_b64 s[30:31], s[48:49]
	s_mov_b64 s[8:9], s[42:43]
	v_mov_b32_e32 v0, 10
	s_getpc_b64 s[4:5]
	s_add_u32 s4, s4, _ZNK8migraphx13basic_printerIZNS_4coutEvEUlT_E_ElsEc@rel32@lo+4
	s_addc_u32 s5, s5, _ZNK8migraphx13basic_printerIZNS_4coutEvEUlT_E_ElsEc@rel32@hi+12
	s_swappc_b64 s[30:31], s[4:5]
	buffer_load_dword v0, off, s[0:3], 0 offset:80
	buffer_load_dword v1, off, s[0:3], 0 offset:84
	s_waitcnt vmcnt(0)
	flat_load_dword v2, v[0:1]
	s_waitcnt vmcnt(0) lgkmcnt(0)
	v_add_u32_e32 v2, 1, v2
	flat_store_dword v[0:1], v2
.LBB6_1584:
	s_or_b64 exec, exec, s[46:47]
	s_add_u32 s8, s52, 16
	s_addc_u32 s9, s53, 0
	s_mov_b32 s12, s58
	s_mov_b32 s13, s57
	;; [unrolled: 1-line block ×3, first 2 shown]
	s_getpc_b64 s[4:5]
	s_add_u32 s4, s4, _ZN8migraphx4test4failEv@rel32@lo+4
	s_addc_u32 s5, s5, _ZN8migraphx4test4failEv@rel32@hi+12
	s_swappc_b64 s[30:31], s[4:5]
	; divergent unreachable
.LBB6_1585:
	s_or_saveexec_b64 s[6:7], s[44:45]
	s_mov_b64 s[4:5], 0
	s_xor_b64 exec, exec, s[6:7]
; %bb.1586:
	s_mov_b64 s[4:5], exec
; %bb.1587:
	s_or_b64 exec, exec, s[6:7]
	s_and_saveexec_b64 s[6:7], s[4:5]
	s_endpgm
	.section	.rodata,"a",@progbits
	.p2align	6, 0x0
	.amdhsa_kernel gpu_test_kernel
		.amdhsa_group_segment_fixed_size 8192
		.amdhsa_private_segment_fixed_size 208
		.amdhsa_kernarg_size 272
		.amdhsa_user_sgpr_count 10
		.amdhsa_user_sgpr_private_segment_buffer 1
		.amdhsa_user_sgpr_dispatch_ptr 1
		.amdhsa_user_sgpr_queue_ptr 0
		.amdhsa_user_sgpr_kernarg_segment_ptr 1
		.amdhsa_user_sgpr_dispatch_id 0
		.amdhsa_user_sgpr_flat_scratch_init 1
		.amdhsa_user_sgpr_private_segment_size 0
		.amdhsa_uses_dynamic_stack 0
		.amdhsa_system_sgpr_private_segment_wavefront_offset 1
		.amdhsa_system_sgpr_workgroup_id_x 1
		.amdhsa_system_sgpr_workgroup_id_y 1
		.amdhsa_system_sgpr_workgroup_id_z 1
		.amdhsa_system_sgpr_workgroup_info 0
		.amdhsa_system_vgpr_workitem_id 2
		.amdhsa_next_free_vgpr 56
		.amdhsa_next_free_sgpr 62
		.amdhsa_reserve_vcc 1
		.amdhsa_reserve_flat_scratch 1
		.amdhsa_float_round_mode_32 0
		.amdhsa_float_round_mode_16_64 0
		.amdhsa_float_denorm_mode_32 3
		.amdhsa_float_denorm_mode_16_64 3
		.amdhsa_dx10_clamp 1
		.amdhsa_ieee_mode 1
		.amdhsa_fp16_overflow 0
		.amdhsa_exception_fp_ieee_invalid_op 0
		.amdhsa_exception_fp_denorm_src 0
		.amdhsa_exception_fp_ieee_div_zero 0
		.amdhsa_exception_fp_ieee_overflow 0
		.amdhsa_exception_fp_ieee_underflow 0
		.amdhsa_exception_fp_ieee_inexact 0
		.amdhsa_exception_int_div_zero 0
	.end_amdhsa_kernel
	.text
.Lfunc_end6:
	.size	gpu_test_kernel, .Lfunc_end6-gpu_test_kernel
                                        ; -- End function
	.section	.AMDGPU.csdata,"",@progbits
; Kernel info:
; codeLenInByte = 54112
; NumSgprs: 68
; NumVgprs: 56
; ScratchSize: 208
; MemoryBound: 0
; FloatMode: 240
; IeeeMode: 1
; LDSByteSize: 8192 bytes/workgroup (compile time only)
; SGPRBlocks: 8
; VGPRBlocks: 13
; NumSGPRsForWavesPerEU: 68
; NumVGPRsForWavesPerEU: 56
; Occupancy: 4
; WaveLimiterHint : 1
; COMPUTE_PGM_RSRC2:SCRATCH_EN: 1
; COMPUTE_PGM_RSRC2:USER_SGPR: 10
; COMPUTE_PGM_RSRC2:TRAP_HANDLER: 0
; COMPUTE_PGM_RSRC2:TGID_X_EN: 1
; COMPUTE_PGM_RSRC2:TGID_Y_EN: 1
; COMPUTE_PGM_RSRC2:TGID_Z_EN: 1
; COMPUTE_PGM_RSRC2:TIDIG_COMP_CNT: 2
	.type	.str.1,@object                  ; @.str.1
	.section	.rodata.str1.1,"aMS",@progbits,1
.str.1:
	.asciz	"/root/src/amdgpu-assembly/repos/ROCm__AMDMIGraphX/_shim/test_algorithm_23_shim.cpp"
	.size	.str.1, 83

	.type	.str.2,@object                  ; @.str.2
.str.2:
	.asciz	"    FAILED: "
	.size	.str.2, 13

	.type	.str.3,@object                  ; @.str.3
.str.3:
	.asciz	" [ "
	.size	.str.3, 4

	.type	.str.4,@object                  ; @.str.4
.str.4:
	.asciz	" ]"
	.size	.str.4, 3

	.type	.str.5,@object                  ; @.str.5
.str.5:
	.asciz	"%s"
	.size	.str.5, 3

	.type	.str.6,@object                  ; @.str.6
.str.6:
	.asciz	"%c"
	.size	.str.6, 3

	.type	.str.7,@object                  ; @.str.7
.str.7:
	.asciz	"%li"
	.size	.str.7, 4

	.type	.str.8,@object                  ; @.str.8
.str.8:
	.asciz	" "
	.size	.str.8, 2

	.type	.str.10,@object                 ; @.str.10
.str.10:
	.asciz	"=="
	.size	.str.10, 3

	.type	.str.11,@object                 ; @.str.11
.str.11:
	.asciz	", "
	.size	.str.11, 3

	.type	.str.16,@object                 ; @.str.16
.str.16:
	.asciz	"result == expected"
	.size	.str.16, 19

	.type	__PRETTY_FUNCTION__._ZL24merge_overlapping_rangesRN8migraphx4test12test_managerE,@object ; @__PRETTY_FUNCTION__._ZL24merge_overlapping_rangesRN8migraphx4test12test_managerE
__PRETTY_FUNCTION__._ZL24merge_overlapping_rangesRN8migraphx4test12test_managerE:
	.asciz	"void merge_overlapping_ranges(migraphx::test::test_manager &)"
	.size	__PRETTY_FUNCTION__._ZL24merge_overlapping_rangesRN8migraphx4test12test_managerE, 62

	.type	__PRETTY_FUNCTION__._ZL16merge_duplicatesRN8migraphx4test12test_managerE,@object ; @__PRETTY_FUNCTION__._ZL16merge_duplicatesRN8migraphx4test12test_managerE
__PRETTY_FUNCTION__._ZL16merge_duplicatesRN8migraphx4test12test_managerE:
	.asciz	"void merge_duplicates(migraphx::test::test_manager &)"
	.size	__PRETTY_FUNCTION__._ZL16merge_duplicatesRN8migraphx4test12test_managerE, 54

	.type	__PRETTY_FUNCTION__._ZL21merge_different_sizesRN8migraphx4test12test_managerE,@object ; @__PRETTY_FUNCTION__._ZL21merge_different_sizesRN8migraphx4test12test_managerE
__PRETTY_FUNCTION__._ZL21merge_different_sizesRN8migraphx4test12test_managerE:
	.asciz	"void merge_different_sizes(migraphx::test::test_manager &)"
	.size	__PRETTY_FUNCTION__._ZL21merge_different_sizesRN8migraphx4test12test_managerE, 59

	.type	__hip_cuid_e66e9ea1d34e9651,@object ; @__hip_cuid_e66e9ea1d34e9651
	.section	.bss,"aw",@nobits
	.globl	__hip_cuid_e66e9ea1d34e9651
__hip_cuid_e66e9ea1d34e9651:
	.byte	0                               ; 0x0
	.size	__hip_cuid_e66e9ea1d34e9651, 1

	.ident	"AMD clang version 19.0.0git (https://github.com/RadeonOpenCompute/llvm-project roc-6.4.0 25133 c7fe45cf4b819c5991fe208aaa96edf142730f1d)"
	.section	".note.GNU-stack","",@progbits
	.addrsig
	.addrsig_sym __hip_cuid_e66e9ea1d34e9651
	.amdgpu_metadata
---
amdhsa.kernels:
  - .args:
      - .offset:         0
        .size:           4
        .value_kind:     by_value
      - .address_space:  global
        .offset:         8
        .size:           8
        .value_kind:     global_buffer
      - .offset:         16
        .size:           4
        .value_kind:     hidden_block_count_x
      - .offset:         20
        .size:           4
        .value_kind:     hidden_block_count_y
      - .offset:         24
        .size:           4
        .value_kind:     hidden_block_count_z
      - .offset:         28
        .size:           2
        .value_kind:     hidden_group_size_x
      - .offset:         30
        .size:           2
        .value_kind:     hidden_group_size_y
      - .offset:         32
        .size:           2
        .value_kind:     hidden_group_size_z
      - .offset:         34
        .size:           2
        .value_kind:     hidden_remainder_x
      - .offset:         36
        .size:           2
        .value_kind:     hidden_remainder_y
      - .offset:         38
        .size:           2
        .value_kind:     hidden_remainder_z
      - .offset:         56
        .size:           8
        .value_kind:     hidden_global_offset_x
      - .offset:         64
        .size:           8
        .value_kind:     hidden_global_offset_y
      - .offset:         72
        .size:           8
        .value_kind:     hidden_global_offset_z
      - .offset:         80
        .size:           2
        .value_kind:     hidden_grid_dims
      - .offset:         96
        .size:           8
        .value_kind:     hidden_hostcall_buffer
    .group_segment_fixed_size: 8192
    .kernarg_segment_align: 8
    .kernarg_segment_size: 272
    .language:       OpenCL C
    .language_version:
      - 2
      - 0
    .max_flat_workgroup_size: 1024
    .name:           gpu_test_kernel
    .private_segment_fixed_size: 208
    .sgpr_count:     68
    .sgpr_spill_count: 0
    .symbol:         gpu_test_kernel.kd
    .uniform_work_group_size: 1
    .uses_dynamic_stack: false
    .vgpr_count:     56
    .vgpr_spill_count: 0
    .wavefront_size: 64
amdhsa.target:   amdgcn-amd-amdhsa--gfx906
amdhsa.version:
  - 1
  - 2
...

	.end_amdgpu_metadata
